;; amdgpu-corpus repo=ROCm/rocFFT kind=compiled arch=gfx1100 opt=O3
	.text
	.amdgcn_target "amdgcn-amd-amdhsa--gfx1100"
	.amdhsa_code_object_version 6
	.protected	fft_rtc_back_len3840_factors_10_6_2_2_2_2_2_2_wgs_128_tpt_128_halfLds_dp_ip_CI_unitstride_sbrr_dirReg ; -- Begin function fft_rtc_back_len3840_factors_10_6_2_2_2_2_2_2_wgs_128_tpt_128_halfLds_dp_ip_CI_unitstride_sbrr_dirReg
	.globl	fft_rtc_back_len3840_factors_10_6_2_2_2_2_2_2_wgs_128_tpt_128_halfLds_dp_ip_CI_unitstride_sbrr_dirReg
	.p2align	8
	.type	fft_rtc_back_len3840_factors_10_6_2_2_2_2_2_2_wgs_128_tpt_128_halfLds_dp_ip_CI_unitstride_sbrr_dirReg,@function
fft_rtc_back_len3840_factors_10_6_2_2_2_2_2_2_wgs_128_tpt_128_halfLds_dp_ip_CI_unitstride_sbrr_dirReg: ; @fft_rtc_back_len3840_factors_10_6_2_2_2_2_2_2_wgs_128_tpt_128_halfLds_dp_ip_CI_unitstride_sbrr_dirReg
; %bb.0:
	s_clause 0x2
	s_load_b128 s[4:7], s[0:1], 0x0
	s_load_b64 s[8:9], s[0:1], 0x50
	s_load_b64 s[10:11], s[0:1], 0x18
	v_mov_b32_e32 v1, 0
	v_mov_b32_e32 v3, 0
	v_dual_mov_b32 v4, 0 :: v_dual_mov_b32 v5, s15
	s_delay_alu instid0(VALU_DEP_3) | instskip(SKIP_2) | instid1(VALU_DEP_1)
	v_mov_b32_e32 v6, v1
	s_waitcnt lgkmcnt(0)
	v_cmp_lt_u64_e64 s2, s[6:7], 2
	s_and_b32 vcc_lo, exec_lo, s2
	s_cbranch_vccnz .LBB0_8
; %bb.1:
	s_load_b64 s[2:3], s[0:1], 0x10
	v_mov_b32_e32 v3, 0
	s_add_u32 s12, s10, 8
	v_mov_b32_e32 v4, 0
	s_addc_u32 s13, s11, 0
	s_mov_b64 s[16:17], 1
	s_waitcnt lgkmcnt(0)
	s_add_u32 s14, s2, 8
	s_addc_u32 s15, s3, 0
.LBB0_2:                                ; =>This Inner Loop Header: Depth=1
	s_load_b64 s[18:19], s[14:15], 0x0
                                        ; implicit-def: $vgpr7_vgpr8
	s_mov_b32 s2, exec_lo
	s_waitcnt lgkmcnt(0)
	v_or_b32_e32 v2, s19, v6
	s_delay_alu instid0(VALU_DEP_1)
	v_cmpx_ne_u64_e32 0, v[1:2]
	s_xor_b32 s3, exec_lo, s2
	s_cbranch_execz .LBB0_4
; %bb.3:                                ;   in Loop: Header=BB0_2 Depth=1
	v_cvt_f32_u32_e32 v2, s18
	v_cvt_f32_u32_e32 v7, s19
	s_sub_u32 s2, 0, s18
	s_subb_u32 s20, 0, s19
	s_delay_alu instid0(VALU_DEP_1) | instskip(NEXT) | instid1(VALU_DEP_1)
	v_fmac_f32_e32 v2, 0x4f800000, v7
	v_rcp_f32_e32 v2, v2
	s_waitcnt_depctr 0xfff
	v_mul_f32_e32 v2, 0x5f7ffffc, v2
	s_delay_alu instid0(VALU_DEP_1) | instskip(NEXT) | instid1(VALU_DEP_1)
	v_mul_f32_e32 v7, 0x2f800000, v2
	v_trunc_f32_e32 v7, v7
	s_delay_alu instid0(VALU_DEP_1) | instskip(SKIP_1) | instid1(VALU_DEP_2)
	v_fmac_f32_e32 v2, 0xcf800000, v7
	v_cvt_u32_f32_e32 v7, v7
	v_cvt_u32_f32_e32 v2, v2
	s_delay_alu instid0(VALU_DEP_2) | instskip(NEXT) | instid1(VALU_DEP_2)
	v_mul_lo_u32 v8, s2, v7
	v_mul_hi_u32 v9, s2, v2
	v_mul_lo_u32 v10, s20, v2
	s_delay_alu instid0(VALU_DEP_2) | instskip(SKIP_1) | instid1(VALU_DEP_2)
	v_add_nc_u32_e32 v8, v9, v8
	v_mul_lo_u32 v9, s2, v2
	v_add_nc_u32_e32 v8, v8, v10
	s_delay_alu instid0(VALU_DEP_2) | instskip(NEXT) | instid1(VALU_DEP_2)
	v_mul_hi_u32 v10, v2, v9
	v_mul_lo_u32 v11, v2, v8
	v_mul_hi_u32 v12, v2, v8
	v_mul_hi_u32 v13, v7, v9
	v_mul_lo_u32 v9, v7, v9
	v_mul_hi_u32 v14, v7, v8
	v_mul_lo_u32 v8, v7, v8
	v_add_co_u32 v10, vcc_lo, v10, v11
	v_add_co_ci_u32_e32 v11, vcc_lo, 0, v12, vcc_lo
	s_delay_alu instid0(VALU_DEP_2) | instskip(NEXT) | instid1(VALU_DEP_2)
	v_add_co_u32 v9, vcc_lo, v10, v9
	v_add_co_ci_u32_e32 v9, vcc_lo, v11, v13, vcc_lo
	v_add_co_ci_u32_e32 v10, vcc_lo, 0, v14, vcc_lo
	s_delay_alu instid0(VALU_DEP_2) | instskip(NEXT) | instid1(VALU_DEP_2)
	v_add_co_u32 v8, vcc_lo, v9, v8
	v_add_co_ci_u32_e32 v9, vcc_lo, 0, v10, vcc_lo
	s_delay_alu instid0(VALU_DEP_2) | instskip(NEXT) | instid1(VALU_DEP_2)
	v_add_co_u32 v2, vcc_lo, v2, v8
	v_add_co_ci_u32_e32 v7, vcc_lo, v7, v9, vcc_lo
	s_delay_alu instid0(VALU_DEP_2) | instskip(SKIP_1) | instid1(VALU_DEP_3)
	v_mul_hi_u32 v8, s2, v2
	v_mul_lo_u32 v10, s20, v2
	v_mul_lo_u32 v9, s2, v7
	s_delay_alu instid0(VALU_DEP_1) | instskip(SKIP_1) | instid1(VALU_DEP_2)
	v_add_nc_u32_e32 v8, v8, v9
	v_mul_lo_u32 v9, s2, v2
	v_add_nc_u32_e32 v8, v8, v10
	s_delay_alu instid0(VALU_DEP_2) | instskip(NEXT) | instid1(VALU_DEP_2)
	v_mul_hi_u32 v10, v2, v9
	v_mul_lo_u32 v11, v2, v8
	v_mul_hi_u32 v12, v2, v8
	v_mul_hi_u32 v13, v7, v9
	v_mul_lo_u32 v9, v7, v9
	v_mul_hi_u32 v14, v7, v8
	v_mul_lo_u32 v8, v7, v8
	v_add_co_u32 v10, vcc_lo, v10, v11
	v_add_co_ci_u32_e32 v11, vcc_lo, 0, v12, vcc_lo
	s_delay_alu instid0(VALU_DEP_2) | instskip(NEXT) | instid1(VALU_DEP_2)
	v_add_co_u32 v9, vcc_lo, v10, v9
	v_add_co_ci_u32_e32 v9, vcc_lo, v11, v13, vcc_lo
	v_add_co_ci_u32_e32 v10, vcc_lo, 0, v14, vcc_lo
	s_delay_alu instid0(VALU_DEP_2) | instskip(NEXT) | instid1(VALU_DEP_2)
	v_add_co_u32 v8, vcc_lo, v9, v8
	v_add_co_ci_u32_e32 v9, vcc_lo, 0, v10, vcc_lo
	s_delay_alu instid0(VALU_DEP_2) | instskip(NEXT) | instid1(VALU_DEP_2)
	v_add_co_u32 v2, vcc_lo, v2, v8
	v_add_co_ci_u32_e32 v13, vcc_lo, v7, v9, vcc_lo
	s_delay_alu instid0(VALU_DEP_2) | instskip(SKIP_1) | instid1(VALU_DEP_3)
	v_mul_hi_u32 v14, v5, v2
	v_mad_u64_u32 v[9:10], null, v6, v2, 0
	v_mad_u64_u32 v[7:8], null, v5, v13, 0
	;; [unrolled: 1-line block ×3, first 2 shown]
	s_delay_alu instid0(VALU_DEP_2) | instskip(NEXT) | instid1(VALU_DEP_3)
	v_add_co_u32 v2, vcc_lo, v14, v7
	v_add_co_ci_u32_e32 v7, vcc_lo, 0, v8, vcc_lo
	s_delay_alu instid0(VALU_DEP_2) | instskip(NEXT) | instid1(VALU_DEP_2)
	v_add_co_u32 v2, vcc_lo, v2, v9
	v_add_co_ci_u32_e32 v2, vcc_lo, v7, v10, vcc_lo
	v_add_co_ci_u32_e32 v7, vcc_lo, 0, v12, vcc_lo
	s_delay_alu instid0(VALU_DEP_2) | instskip(NEXT) | instid1(VALU_DEP_2)
	v_add_co_u32 v2, vcc_lo, v2, v11
	v_add_co_ci_u32_e32 v9, vcc_lo, 0, v7, vcc_lo
	s_delay_alu instid0(VALU_DEP_2) | instskip(SKIP_1) | instid1(VALU_DEP_3)
	v_mul_lo_u32 v10, s19, v2
	v_mad_u64_u32 v[7:8], null, s18, v2, 0
	v_mul_lo_u32 v11, s18, v9
	s_delay_alu instid0(VALU_DEP_2) | instskip(NEXT) | instid1(VALU_DEP_2)
	v_sub_co_u32 v7, vcc_lo, v5, v7
	v_add3_u32 v8, v8, v11, v10
	s_delay_alu instid0(VALU_DEP_1) | instskip(NEXT) | instid1(VALU_DEP_1)
	v_sub_nc_u32_e32 v10, v6, v8
	v_subrev_co_ci_u32_e64 v10, s2, s19, v10, vcc_lo
	v_add_co_u32 v11, s2, v2, 2
	s_delay_alu instid0(VALU_DEP_1) | instskip(SKIP_3) | instid1(VALU_DEP_3)
	v_add_co_ci_u32_e64 v12, s2, 0, v9, s2
	v_sub_co_u32 v13, s2, v7, s18
	v_sub_co_ci_u32_e32 v8, vcc_lo, v6, v8, vcc_lo
	v_subrev_co_ci_u32_e64 v10, s2, 0, v10, s2
	v_cmp_le_u32_e32 vcc_lo, s18, v13
	s_delay_alu instid0(VALU_DEP_3) | instskip(SKIP_1) | instid1(VALU_DEP_4)
	v_cmp_eq_u32_e64 s2, s19, v8
	v_cndmask_b32_e64 v13, 0, -1, vcc_lo
	v_cmp_le_u32_e32 vcc_lo, s19, v10
	v_cndmask_b32_e64 v14, 0, -1, vcc_lo
	v_cmp_le_u32_e32 vcc_lo, s18, v7
	;; [unrolled: 2-line block ×3, first 2 shown]
	v_cndmask_b32_e64 v15, 0, -1, vcc_lo
	v_cmp_eq_u32_e32 vcc_lo, s19, v10
	s_delay_alu instid0(VALU_DEP_2) | instskip(SKIP_3) | instid1(VALU_DEP_3)
	v_cndmask_b32_e64 v7, v15, v7, s2
	v_cndmask_b32_e32 v10, v14, v13, vcc_lo
	v_add_co_u32 v13, vcc_lo, v2, 1
	v_add_co_ci_u32_e32 v14, vcc_lo, 0, v9, vcc_lo
	v_cmp_ne_u32_e32 vcc_lo, 0, v10
	s_delay_alu instid0(VALU_DEP_2) | instskip(NEXT) | instid1(VALU_DEP_4)
	v_cndmask_b32_e32 v8, v14, v12, vcc_lo
	v_cndmask_b32_e32 v10, v13, v11, vcc_lo
	v_cmp_ne_u32_e32 vcc_lo, 0, v7
	s_delay_alu instid0(VALU_DEP_2)
	v_dual_cndmask_b32 v7, v2, v10 :: v_dual_cndmask_b32 v8, v9, v8
.LBB0_4:                                ;   in Loop: Header=BB0_2 Depth=1
	s_and_not1_saveexec_b32 s2, s3
	s_cbranch_execz .LBB0_6
; %bb.5:                                ;   in Loop: Header=BB0_2 Depth=1
	v_cvt_f32_u32_e32 v2, s18
	s_sub_i32 s3, 0, s18
	s_delay_alu instid0(VALU_DEP_1) | instskip(SKIP_2) | instid1(VALU_DEP_1)
	v_rcp_iflag_f32_e32 v2, v2
	s_waitcnt_depctr 0xfff
	v_mul_f32_e32 v2, 0x4f7ffffe, v2
	v_cvt_u32_f32_e32 v2, v2
	s_delay_alu instid0(VALU_DEP_1) | instskip(NEXT) | instid1(VALU_DEP_1)
	v_mul_lo_u32 v7, s3, v2
	v_mul_hi_u32 v7, v2, v7
	s_delay_alu instid0(VALU_DEP_1) | instskip(NEXT) | instid1(VALU_DEP_1)
	v_add_nc_u32_e32 v2, v2, v7
	v_mul_hi_u32 v2, v5, v2
	s_delay_alu instid0(VALU_DEP_1) | instskip(SKIP_1) | instid1(VALU_DEP_2)
	v_mul_lo_u32 v7, v2, s18
	v_add_nc_u32_e32 v8, 1, v2
	v_sub_nc_u32_e32 v7, v5, v7
	s_delay_alu instid0(VALU_DEP_1) | instskip(SKIP_1) | instid1(VALU_DEP_2)
	v_subrev_nc_u32_e32 v9, s18, v7
	v_cmp_le_u32_e32 vcc_lo, s18, v7
	v_dual_cndmask_b32 v7, v7, v9 :: v_dual_cndmask_b32 v2, v2, v8
	s_delay_alu instid0(VALU_DEP_1) | instskip(NEXT) | instid1(VALU_DEP_2)
	v_cmp_le_u32_e32 vcc_lo, s18, v7
	v_add_nc_u32_e32 v8, 1, v2
	s_delay_alu instid0(VALU_DEP_1)
	v_dual_cndmask_b32 v7, v2, v8 :: v_dual_mov_b32 v8, v1
.LBB0_6:                                ;   in Loop: Header=BB0_2 Depth=1
	s_or_b32 exec_lo, exec_lo, s2
	s_load_b64 s[2:3], s[12:13], 0x0
	s_delay_alu instid0(VALU_DEP_1) | instskip(NEXT) | instid1(VALU_DEP_2)
	v_mul_lo_u32 v2, v8, s18
	v_mul_lo_u32 v11, v7, s19
	v_mad_u64_u32 v[9:10], null, v7, s18, 0
	s_add_u32 s16, s16, 1
	s_addc_u32 s17, s17, 0
	s_add_u32 s12, s12, 8
	s_addc_u32 s13, s13, 0
	;; [unrolled: 2-line block ×3, first 2 shown]
	s_delay_alu instid0(VALU_DEP_1) | instskip(SKIP_1) | instid1(VALU_DEP_2)
	v_add3_u32 v2, v10, v11, v2
	v_sub_co_u32 v9, vcc_lo, v5, v9
	v_sub_co_ci_u32_e32 v2, vcc_lo, v6, v2, vcc_lo
	s_waitcnt lgkmcnt(0)
	s_delay_alu instid0(VALU_DEP_2) | instskip(NEXT) | instid1(VALU_DEP_2)
	v_mul_lo_u32 v10, s3, v9
	v_mul_lo_u32 v2, s2, v2
	v_mad_u64_u32 v[5:6], null, s2, v9, v[3:4]
	v_cmp_ge_u64_e64 s2, s[16:17], s[6:7]
	s_delay_alu instid0(VALU_DEP_1) | instskip(NEXT) | instid1(VALU_DEP_2)
	s_and_b32 vcc_lo, exec_lo, s2
	v_add3_u32 v4, v10, v6, v2
	s_delay_alu instid0(VALU_DEP_3)
	v_mov_b32_e32 v3, v5
	s_cbranch_vccnz .LBB0_9
; %bb.7:                                ;   in Loop: Header=BB0_2 Depth=1
	v_dual_mov_b32 v5, v7 :: v_dual_mov_b32 v6, v8
	s_branch .LBB0_2
.LBB0_8:
	v_dual_mov_b32 v8, v6 :: v_dual_mov_b32 v7, v5
.LBB0_9:
	s_lshl_b64 s[2:3], s[6:7], 3
	v_or_b32_e32 v147, 0x80, v0
	s_add_u32 s2, s10, s2
	s_addc_u32 s3, s11, s3
	v_or_b32_e32 v132, 0x100, v0
	s_load_b64 s[2:3], s[2:3], 0x0
	s_load_b64 s[0:1], s[0:1], 0x20
	v_or_b32_e32 v137, 0x280, v0
	v_or_b32_e32 v131, 0x500, v0
	;; [unrolled: 1-line block ×12, first 2 shown]
	s_waitcnt lgkmcnt(0)
	v_mul_lo_u32 v1, s2, v8
	v_mul_lo_u32 v2, s3, v7
	v_mad_u64_u32 v[5:6], null, s2, v7, v[3:4]
	v_cmp_gt_u64_e32 vcc_lo, s[0:1], v[7:8]
	v_cmp_le_u64_e64 s0, s[0:1], v[7:8]
	s_delay_alu instid0(VALU_DEP_3) | instskip(NEXT) | instid1(VALU_DEP_2)
	v_add3_u32 v6, v2, v6, v1
	s_and_saveexec_b32 s1, s0
	s_delay_alu instid0(SALU_CYCLE_1)
	s_xor_b32 s0, exec_lo, s1
	s_cbranch_execz .LBB0_11
; %bb.10:
	v_mov_b32_e32 v1, 0
	v_or_b32_e32 v147, 0x80, v0
	v_or_b32_e32 v132, 0x100, v0
	;; [unrolled: 1-line block ×14, first 2 shown]
	v_mov_b32_e32 v148, v1
	v_mov_b32_e32 v133, v1
	;; [unrolled: 1-line block ×6, first 2 shown]
.LBB0_11:
	s_or_saveexec_b32 s1, s0
	v_lshlrev_b64 v[2:3], 4, v[5:6]
	v_lshlrev_b32_e32 v211, 4, v0
                                        ; implicit-def: $vgpr4_vgpr5
                                        ; implicit-def: $vgpr8_vgpr9
                                        ; implicit-def: $vgpr24_vgpr25
                                        ; implicit-def: $vgpr36_vgpr37
                                        ; implicit-def: $vgpr32_vgpr33
                                        ; implicit-def: $vgpr44_vgpr45
                                        ; implicit-def: $vgpr28_vgpr29
                                        ; implicit-def: $vgpr40_vgpr41
                                        ; implicit-def: $vgpr48_vgpr49
                                        ; implicit-def: $vgpr52_vgpr53
                                        ; implicit-def: $vgpr12_vgpr13
                                        ; implicit-def: $vgpr16_vgpr17
                                        ; implicit-def: $vgpr56_vgpr57
                                        ; implicit-def: $vgpr64_vgpr65
                                        ; implicit-def: $vgpr84_vgpr85
                                        ; implicit-def: $vgpr100_vgpr101
                                        ; implicit-def: $vgpr88_vgpr89
                                        ; implicit-def: $vgpr108_vgpr109
                                        ; implicit-def: $vgpr72_vgpr73
                                        ; implicit-def: $vgpr76_vgpr77
                                        ; implicit-def: $vgpr20_vgpr21
                                        ; implicit-def: $vgpr60_vgpr61
                                        ; implicit-def: $vgpr68_vgpr69
                                        ; implicit-def: $vgpr96_vgpr97
                                        ; implicit-def: $vgpr104_vgpr105
                                        ; implicit-def: $vgpr116_vgpr117
                                        ; implicit-def: $vgpr112_vgpr113
                                        ; implicit-def: $vgpr120_vgpr121
                                        ; implicit-def: $vgpr80_vgpr81
                                        ; implicit-def: $vgpr92_vgpr93
	scratch_store_b64 off, v[2:3], off      ; 8-byte Folded Spill
	s_xor_b32 exec_lo, exec_lo, s1
	s_cbranch_execz .LBB0_13
; %bb.12:
	scratch_load_b64 v[1:2], off, off       ; 8-byte Folded Reload
	v_lshlrev_b32_e32 v5, 4, v126
	v_lshlrev_b32_e32 v7, 4, v135
	;; [unrolled: 1-line block ×4, first 2 shown]
	v_or_b32_e32 v13, 0x7800, v211
	v_or_b32_e32 v15, 0x9000, v211
	;; [unrolled: 1-line block ×5, first 2 shown]
	v_lshlrev_b32_e32 v23, 4, v145
	v_lshlrev_b32_e32 v25, 4, v130
	;; [unrolled: 1-line block ×4, first 2 shown]
	v_or_b32_e32 v31, 0x8000, v211
	v_or_b32_e32 v33, 0x9800, v211
	;; [unrolled: 1-line block ×5, first 2 shown]
	v_lshlrev_b32_e32 v41, 4, v132
	v_lshlrev_b32_e32 v43, 4, v137
	;; [unrolled: 1-line block ×4, first 2 shown]
	s_waitcnt vmcnt(0)
	v_add_co_u32 v3, s0, s8, v1
	s_delay_alu instid0(VALU_DEP_1) | instskip(NEXT) | instid1(VALU_DEP_2)
	v_add_co_ci_u32_e64 v4, s0, s9, v2, s0
	v_add_co_u32 v1, s0, v3, v211
	s_delay_alu instid0(VALU_DEP_1) | instskip(SKIP_1) | instid1(VALU_DEP_1)
	v_add_co_ci_u32_e64 v2, s0, 0, v4, s0
	v_add_co_u32 v5, s0, v3, v5
	v_add_co_ci_u32_e64 v6, s0, 0, v4, s0
	v_add_co_u32 v7, s0, v3, v7
	s_delay_alu instid0(VALU_DEP_1) | instskip(SKIP_1) | instid1(VALU_DEP_1)
	v_add_co_ci_u32_e64 v8, s0, 0, v4, s0
	v_add_co_u32 v9, s0, v3, v9
	;; [unrolled: 5-line block ×10, first 2 shown]
	v_add_co_ci_u32_e64 v42, s0, 0, v4, s0
	v_add_co_u32 v43, s0, v3, v43
	s_delay_alu instid0(VALU_DEP_1)
	v_add_co_ci_u32_e64 v44, s0, 0, v4, s0
	v_add_co_u32 v122, s0, v3, v45
	v_lshlrev_b32_e32 v45, 4, v142
	v_add_co_ci_u32_e64 v123, s0, 0, v4, s0
	v_add_co_u32 v124, s0, v3, v46
	v_or_b32_e32 v46, 0x8800, v211
	v_add_co_ci_u32_e64 v125, s0, 0, v4, s0
	v_add_co_u32 v150, s0, v3, v45
	v_or_b32_e32 v45, 0xa000, v211
	v_add_co_ci_u32_e64 v151, s0, 0, v4, s0
	v_add_co_u32 v152, s0, v3, v46
	v_or_b32_e32 v46, 0xb800, v211
	v_add_co_ci_u32_e64 v153, s0, 0, v4, s0
	v_add_co_u32 v154, s0, v3, v45
	v_or_b32_e32 v45, 0xd000, v211
	v_add_co_ci_u32_e64 v155, s0, 0, v4, s0
	v_add_co_u32 v156, s0, v3, v46
	v_or_b32_e32 v46, 0xe800, v211
	v_add_co_ci_u32_e64 v157, s0, 0, v4, s0
	v_add_co_u32 v158, s0, v3, v45
	s_delay_alu instid0(VALU_DEP_1) | instskip(NEXT) | instid1(VALU_DEP_4)
	v_add_co_ci_u32_e64 v159, s0, 0, v4, s0
	v_add_co_u32 v3, s0, v3, v46
	s_delay_alu instid0(VALU_DEP_1)
	v_add_co_ci_u32_e64 v4, s0, 0, v4, s0
	s_clause 0x1d
	global_load_b128 v[78:81], v[5:6], off
	global_load_b128 v[118:121], v[7:8], off
	;; [unrolled: 1-line block ×9, first 2 shown]
	global_load_b128 v[74:77], v[1:2], off offset:2048
	global_load_b128 v[18:21], v[21:22], off
	global_load_b128 v[70:73], v[23:24], off
	;; [unrolled: 1-line block ×20, first 2 shown]
	v_mov_b32_e32 v1, 0
	s_delay_alu instid0(VALU_DEP_1)
	v_mov_b32_e32 v127, v1
	v_mov_b32_e32 v136, v1
	;; [unrolled: 1-line block ×6, first 2 shown]
.LBB0_13:
	s_or_b32 exec_lo, exec_lo, s1
	s_waitcnt vmcnt(23)
	v_add_f64 v[195:196], v[68:69], v[104:105]
	s_waitcnt vmcnt(19)
	v_add_f64 v[197:198], v[20:21], v[112:113]
	v_add_f64 v[122:123], v[118:119], v[90:91]
	;; [unrolled: 1-line block ×4, first 2 shown]
	v_add_f64 v[181:182], v[118:119], -v[114:115]
	v_add_f64 v[187:188], v[58:59], -v[94:95]
	v_add_f64 v[191:192], v[66:67], v[102:103]
	v_add_f64 v[193:194], v[18:19], v[110:111]
	v_add_f64 v[201:202], v[110:111], -v[102:103]
	v_add_f64 v[209:210], v[110:111], -v[18:19]
	v_add_f64 v[212:213], v[112:113], -v[104:105]
	v_add_f64 v[214:215], v[104:105], -v[112:113]
	v_add_f64 v[218:219], v[102:103], -v[66:67]
	v_add_f64 v[220:221], v[18:19], -v[66:67]
	v_add_f64 v[244:245], v[20:21], -v[68:69]
	v_add_f64 v[246:247], v[68:69], -v[20:21]
	s_mov_b32 s12, 0x134454ff
	s_mov_b32 s13, 0xbfee6f0e
	;; [unrolled: 1-line block ×4, first 2 shown]
	v_add_f64 v[199:200], v[112:113], -v[20:21]
	v_add_f64 v[216:217], v[104:105], -v[68:69]
	v_add_f64 v[159:160], v[110:111], v[78:79]
	s_waitcnt vmcnt(17)
	v_add_f64 v[165:166], v[108:109], v[76:77]
	v_add_f64 v[171:172], v[94:95], v[114:115]
	v_add_f64 v[173:174], v[58:59], v[118:119]
	s_mov_b32 s10, 0x4755a5e
	s_mov_b32 s11, 0xbfe2cf23
	;; [unrolled: 1-line block ×4, first 2 shown]
	v_add_f64 v[163:164], v[106:107], v[74:75]
	s_waitcnt vmcnt(16)
	v_add_f64 v[167:168], v[86:87], v[70:71]
	v_add_f64 v[175:176], v[96:97], v[116:117]
	;; [unrolled: 1-line block ×3, first 2 shown]
	v_add_f64 v[179:180], v[120:121], -v[60:61]
	v_add_f64 v[153:154], v[120:121], -v[116:117]
	;; [unrolled: 1-line block ×3, first 2 shown]
	v_fma_f64 v[195:196], v[195:196], -0.5, v[80:81]
	v_fma_f64 v[80:81], v[197:198], -0.5, v[80:81]
	v_add_f64 v[203:204], v[114:115], v[122:123]
	v_add_f64 v[205:206], v[116:117], v[124:125]
	v_add_f64 v[185:186], v[116:117], -v[96:97]
	v_add_f64 v[120:121], v[114:115], -v[94:95]
	v_add_f64 v[181:182], v[187:188], v[181:182]
	v_fma_f64 v[191:192], v[191:192], -0.5, v[78:79]
	v_fma_f64 v[193:194], v[193:194], -0.5, v[78:79]
	v_add_f64 v[189:190], v[94:95], -v[58:59]
	v_add_f64 v[155:156], v[60:61], -v[96:97]
	;; [unrolled: 1-line block ×5, first 2 shown]
	v_add_f64 v[187:188], v[220:221], v[201:202]
	v_add_f64 v[201:202], v[244:245], v[212:213]
	;; [unrolled: 1-line block ×3, first 2 shown]
	s_waitcnt vmcnt(7)
	v_add_f64 v[236:237], v[38:39], v[50:51]
	v_add_f64 v[238:239], v[40:41], v[52:53]
	;; [unrolled: 1-line block ×3, first 2 shown]
	s_mov_b32 s6, 0x372fe950
	s_mov_b32 s7, 0x3fd3c6ef
	v_add_f64 v[222:223], v[62:63], v[98:99]
	v_add_f64 v[159:160], v[102:103], v[159:160]
	;; [unrolled: 1-line block ×3, first 2 shown]
	v_fma_f64 v[171:172], v[171:172], -0.5, v[90:91]
	v_fma_f64 v[90:91], v[173:174], -0.5, v[90:91]
	v_add_f64 v[224:225], v[14:15], v[106:107]
	v_add_f64 v[228:229], v[16:17], v[108:109]
	;; [unrolled: 1-line block ×5, first 2 shown]
	v_add_f64 v[183:184], v[114:115], -v[118:119]
	v_add_f64 v[118:119], v[118:119], -v[58:59]
	v_add_f64 v[232:233], v[10:11], v[86:87]
	v_add_f64 v[240:241], v[12:13], v[88:89]
	;; [unrolled: 1-line block ×4, first 2 shown]
	v_fma_f64 v[220:221], v[209:210], s[0:1], v[195:196]
	v_fma_f64 v[214:215], v[218:219], s[12:13], v[80:81]
	;; [unrolled: 1-line block ×4, first 2 shown]
	v_add_f64 v[94:95], v[94:95], v[203:204]
	v_add_f64 v[96:97], v[96:97], v[205:206]
	v_add_f64 v[226:227], v[64:65], v[100:101]
	v_add_f64 v[124:125], v[106:107], -v[98:99]
	v_add_f64 v[116:117], v[98:99], -v[106:107]
	;; [unrolled: 1-line block ×6, first 2 shown]
	v_add_f64 v[207:208], v[242:243], v[207:208]
	v_add_f64 v[205:206], v[82:83], -v[86:87]
	v_fma_f64 v[173:174], v[175:176], -0.5, v[92:93]
	v_fma_f64 v[92:93], v[177:178], -0.5, v[92:93]
	v_add_f64 v[177:178], v[82:83], -v[54:55]
	v_add_f64 v[82:83], v[64:65], -v[16:17]
	v_add_f64 v[68:69], v[68:69], v[161:162]
	s_waitcnt vmcnt(0)
	v_add_f64 v[161:162], v[4:5], v[28:29]
	v_add_f64 v[86:87], v[86:87], -v[10:11]
	v_fma_f64 v[222:223], v[222:223], -0.5, v[74:75]
	v_add_f64 v[66:67], v[66:67], v[159:160]
	v_add_f64 v[159:160], v[24:25], v[32:33]
	;; [unrolled: 1-line block ×6, first 2 shown]
	v_fma_f64 v[224:225], v[224:225], -0.5, v[74:75]
	v_fma_f64 v[74:75], v[228:229], -0.5, v[76:77]
	;; [unrolled: 1-line block ×4, first 2 shown]
	v_add_f64 v[104:105], v[14:15], -v[62:63]
	v_add_f64 v[102:103], v[62:63], -v[14:15]
	v_add_f64 v[169:170], v[84:85], v[169:170]
	v_fma_f64 v[70:71], v[232:233], -0.5, v[70:71]
	v_fma_f64 v[72:73], v[240:241], -0.5, v[72:73]
	v_add_f64 v[232:233], v[22:23], v[30:31]
	v_fma_f64 v[214:215], v[209:210], s[2:3], v[214:215]
	v_fma_f64 v[80:81], v[209:210], s[10:11], v[80:81]
	;; [unrolled: 1-line block ×8, first 2 shown]
	v_add_f64 v[94:95], v[58:59], v[94:95]
	v_add_f64 v[58:59], v[60:61], v[96:97]
	;; [unrolled: 1-line block ×5, first 2 shown]
	v_add_f64 v[163:164], v[10:11], -v[54:55]
	v_add_f64 v[167:168], v[54:55], v[167:168]
	v_add_f64 v[54:55], v[54:55], -v[10:11]
	v_add_f64 v[183:184], v[189:190], v[183:184]
	s_clause 0x2
	scratch_store_b64 off, v[128:129], off offset:8
	scratch_store_b64 off, v[129:130], off offset:16
	;; [unrolled: 1-line block ×3, first 2 shown]
	v_mov_b32_e32 v129, v127
	v_dual_mov_b32 v139, v131 :: v_dual_mov_b32 v128, v126
	v_dual_mov_b32 v126, v145 :: v_dual_mov_b32 v127, v146
	;; [unrolled: 1-line block ×3, first 2 shown]
	v_mov_b32_e32 v144, v142
	v_add_f64 v[175:176], v[88:89], -v[84:85]
	v_mov_b32_e32 v149, v134
	v_add_f64 v[60:61], v[12:13], -v[56:57]
	v_fma_f64 v[159:160], v[159:160], -0.5, v[48:49]
	v_add_f64 v[254:255], v[26:27], -v[30:31]
	v_add_f64 v[133:134], v[30:31], -v[26:27]
	;; [unrolled: 1-line block ×3, first 2 shown]
	v_fma_f64 v[48:49], v[161:162], -0.5, v[48:49]
	v_add_f64 v[238:239], v[32:33], v[238:239]
	v_add_f64 v[110:111], v[108:109], -v[16:17]
	v_add_f64 v[114:115], v[108:109], -v[100:101]
	v_fma_f64 v[80:81], v[212:213], s[6:7], v[80:81]
	v_fma_f64 v[209:210], v[201:202], s[6:7], v[209:210]
	;; [unrolled: 1-line block ×12, first 2 shown]
	v_add_f64 v[96:97], v[30:31], v[96:97]
	v_add_f64 v[30:31], v[30:31], -v[22:23]
	v_add_f64 v[108:109], v[100:101], -v[108:109]
	;; [unrolled: 1-line block ×5, first 2 shown]
	v_add_f64 v[153:154], v[155:156], v[153:154]
	v_add_f64 v[18:19], v[18:19], v[66:67]
	;; [unrolled: 1-line block ×3, first 2 shown]
	v_fma_f64 v[68:69], v[86:87], s[0:1], v[230:231]
	v_add_f64 v[197:198], v[34:35], v[42:43]
	v_add_f64 v[248:249], v[36:37], v[44:45]
	v_fma_f64 v[78:79], v[226:227], -0.5, v[76:77]
	v_add_f64 v[76:77], v[6:7], v[38:39]
	v_add_f64 v[226:227], v[8:9], v[40:41]
	v_add_f64 v[169:170], v[56:57], v[169:170]
	v_add_f64 v[56:57], v[56:57], -v[12:13]
	v_fma_f64 v[232:233], v[232:233], -0.5, v[46:47]
	v_fma_f64 v[46:47], v[234:235], -0.5, v[46:47]
	v_add_f64 v[236:237], v[36:37], v[236:237]
	v_add_f64 v[252:253], v[32:33], -v[24:25]
	v_add_f64 v[54:55], v[54:55], v[205:206]
	v_mov_b32_e32 v143, v138
	v_add_f64 v[131:132], v[28:29], -v[32:33]
	v_add_f64 v[32:33], v[32:33], -v[28:29]
	;; [unrolled: 1-line block ×3, first 2 shown]
	v_mul_f64 v[155:156], v[80:81], s[12:13]
	v_mov_b32_e32 v142, v137
	v_add_f64 v[137:138], v[4:5], -v[24:25]
	v_add_f64 v[151:152], v[157:158], v[151:152]
	v_mul_f64 v[157:158], v[195:196], s[10:11]
	v_fma_f64 v[189:190], v[207:208], s[6:7], v[216:217]
	v_fma_f64 v[193:194], v[207:208], s[6:7], v[193:194]
	v_mul_f64 v[207:208], v[199:200], s[12:13]
	v_fma_f64 v[201:202], v[185:186], s[10:11], v[201:202]
	v_fma_f64 v[171:172], v[185:186], s[2:3], v[171:172]
	;; [unrolled: 1-line block ×4, first 2 shown]
	v_add_f64 v[96:97], v[22:23], v[96:97]
	v_fma_f64 v[212:213], v[86:87], s[12:13], v[230:231]
	v_fma_f64 v[179:180], v[187:188], s[6:7], v[218:219]
	;; [unrolled: 1-line block ×4, first 2 shown]
	v_add_f64 v[60:61], v[60:61], v[175:176]
	v_fma_f64 v[92:93], v[120:121], s[0:1], v[92:93]
	v_fma_f64 v[175:176], v[26:27], s[0:1], v[159:160]
	v_add_f64 v[238:239], v[24:25], v[238:239]
	v_add_f64 v[24:25], v[24:25], -v[4:5]
	v_add_f64 v[214:215], v[16:17], v[64:65]
	v_fma_f64 v[64:65], v[30:31], s[12:13], v[48:49]
	v_fma_f64 v[48:49], v[30:31], s[0:1], v[48:49]
	;; [unrolled: 1-line block ×3, first 2 shown]
	s_mov_b32 s19, 0xbfd3c6ef
	s_mov_b32 s18, s6
	v_fma_f64 v[68:69], v[177:178], s[2:3], v[68:69]
	v_fma_f64 v[197:198], v[197:198], -0.5, v[50:51]
	v_fma_f64 v[50:51], v[76:77], -0.5, v[50:51]
	;; [unrolled: 1-line block ×4, first 2 shown]
	v_add_f64 v[226:227], v[44:45], -v[36:37]
	v_add_f64 v[234:235], v[40:41], -v[44:45]
	;; [unrolled: 1-line block ×8, first 2 shown]
	v_fma_f64 v[218:219], v[252:253], s[0:1], v[46:47]
	v_fma_f64 v[220:221], v[100:101], s[0:1], v[228:229]
	v_add_f64 v[56:57], v[56:57], v[88:89]
	v_fma_f64 v[155:156], v[193:194], s[18:19], v[155:156]
	v_fma_f64 v[205:206], v[189:190], s[6:7], v[207:208]
	;; [unrolled: 1-line block ×11, first 2 shown]
	v_add_f64 v[228:229], v[8:9], v[236:237]
	v_add_f64 v[96:97], v[2:3], v[96:97]
	;; [unrolled: 1-line block ×3, first 2 shown]
	v_add_f64 v[8:9], v[94:95], -v[18:19]
	v_add_f64 v[106:107], v[106:107], -v[14:15]
	s_mov_b32 s14, 0x9b97f4a8
	s_mov_b32 s15, 0x3fe9e377
	;; [unrolled: 1-line block ×4, first 2 shown]
	v_add_f64 v[165:166], v[34:35], v[165:166]
	v_add_f64 v[163:164], v[163:164], v[203:204]
	v_fma_f64 v[203:204], v[118:119], s[0:1], v[173:174]
	v_fma_f64 v[173:174], v[118:119], s[12:13], v[173:174]
	;; [unrolled: 1-line block ×6, first 2 shown]
	v_add_f64 v[118:119], v[137:138], v[131:132]
	v_fma_f64 v[131:132], v[30:31], s[2:3], v[175:176]
	v_mul_f64 v[191:192], v[209:210], s[10:11]
	v_add_f64 v[24:25], v[24:25], v[32:33]
	v_fma_f64 v[32:33], v[26:27], s[2:3], v[64:65]
	v_fma_f64 v[46:47], v[252:253], s[12:13], v[46:47]
	;; [unrolled: 1-line block ×5, first 2 shown]
	v_add_f64 v[240:241], v[38:39], -v[42:43]
	v_add_f64 v[161:162], v[42:43], -v[38:39]
	;; [unrolled: 1-line block ×3, first 2 shown]
	v_fma_f64 v[94:95], v[86:87], s[2:3], v[207:208]
	v_fma_f64 v[72:73], v[86:87], s[10:11], v[72:73]
	;; [unrolled: 1-line block ×3, first 2 shown]
	v_add_f64 v[104:105], v[104:105], v[124:125]
	v_fma_f64 v[124:125], v[110:111], s[0:1], v[222:223]
	v_fma_f64 v[88:89], v[84:85], s[10:11], v[181:182]
	v_add_f64 v[16:17], v[90:91], v[155:156]
	v_fma_f64 v[181:182], v[100:101], s[10:11], v[183:184]
	v_add_f64 v[18:19], v[90:91], -v[155:156]
	v_fma_f64 v[90:91], v[110:111], s[12:13], v[222:223]
	v_fma_f64 v[70:71], v[100:101], s[2:3], v[70:71]
	;; [unrolled: 1-line block ×5, first 2 shown]
	v_add_f64 v[22:23], v[22:23], v[133:134]
	v_fma_f64 v[133:134], v[28:29], s[10:11], v[218:219]
	v_fma_f64 v[159:160], v[106:107], s[0:1], v[78:79]
	;; [unrolled: 1-line block ×3, first 2 shown]
	v_add_f64 v[42:43], v[42:43], -v[34:35]
	v_add_f64 v[248:249], v[6:7], -v[34:35]
	;; [unrolled: 1-line block ×3, first 2 shown]
	v_add_f64 v[165:166], v[6:7], v[165:166]
	v_add_f64 v[6:7], v[171:172], v[157:158]
	v_add_f64 v[20:21], v[171:172], -v[157:158]
	v_add_f64 v[64:65], v[135:136], v[254:255]
	v_fma_f64 v[135:136], v[252:253], s[10:11], v[216:217]
	v_fma_f64 v[78:79], v[106:107], s[12:13], v[78:79]
	;; [unrolled: 1-line block ×4, first 2 shown]
	v_add_f64 v[102:103], v[102:103], v[116:117]
	v_fma_f64 v[116:117], v[118:119], s[6:7], v[131:132]
	v_fma_f64 v[191:192], v[179:180], s[14:15], v[191:192]
	v_mul_f64 v[175:176], v[179:180], s[2:3]
	v_fma_f64 v[177:178], v[40:41], s[0:1], v[197:198]
	v_fma_f64 v[179:180], v[226:227], s[0:1], v[50:51]
	;; [unrolled: 1-line block ×16, first 2 shown]
	v_mul_f64 v[72:73], v[189:190], s[0:1]
	v_fma_f64 v[90:91], v[122:123], s[10:11], v[90:91]
	v_fma_f64 v[122:123], v[122:123], s[2:3], v[124:125]
	v_fma_f64 v[124:125], v[38:39], s[0:1], v[76:77]
	v_fma_f64 v[46:47], v[38:39], s[12:13], v[76:77]
	v_fma_f64 v[54:55], v[54:55], s[6:7], v[70:71]
	v_mul_f64 v[70:71], v[68:69], s[10:11]
	v_fma_f64 v[76:77], v[110:111], s[10:11], v[137:138]
	v_fma_f64 v[110:111], v[110:111], s[2:3], v[155:156]
	;; [unrolled: 1-line block ×3, first 2 shown]
	v_add_f64 v[98:99], v[98:99], v[114:115]
	v_fma_f64 v[114:115], v[112:113], s[2:3], v[159:160]
	v_fma_f64 v[84:85], v[163:164], s[6:7], v[84:85]
	v_add_f64 v[82:83], v[82:83], v[108:109]
	v_fma_f64 v[48:49], v[64:65], s[6:7], v[135:136]
	v_fma_f64 v[78:79], v[112:113], s[10:11], v[78:79]
	;; [unrolled: 1-line block ×4, first 2 shown]
	v_add_f64 v[159:160], v[248:249], v[240:241]
	v_mul_f64 v[171:172], v[116:117], s[10:11]
	v_mul_f64 v[80:81], v[80:81], s[18:19]
	v_add_f64 v[34:35], v[34:35], v[161:162]
	v_fma_f64 v[163:164], v[226:227], s[2:3], v[177:178]
	v_fma_f64 v[161:162], v[40:41], s[10:11], v[179:180]
	;; [unrolled: 1-line block ×3, first 2 shown]
	v_mul_f64 v[177:178], v[32:33], s[12:13]
	v_fma_f64 v[22:23], v[22:23], s[6:7], v[28:29]
	v_mul_f64 v[133:134], v[94:95], s[12:13]
	v_mul_f64 v[137:138], v[56:57], s[12:13]
	v_mul_f64 v[155:156], v[60:61], s[10:11]
	v_fma_f64 v[86:87], v[226:227], s[10:11], v[86:87]
	v_mul_f64 v[60:61], v[60:61], s[16:17]
	v_mul_f64 v[28:29], v[24:25], s[12:13]
	v_fma_f64 v[26:27], v[64:65], s[6:7], v[26:27]
	v_mul_f64 v[135:136], v[100:101], s[0:1]
	v_mul_f64 v[64:65], v[30:31], s[10:11]
	v_fma_f64 v[112:113], v[42:43], s[12:13], v[52:53]
	v_fma_f64 v[52:53], v[42:43], s[0:1], v[52:53]
	v_mul_f64 v[118:119], v[195:196], s[16:17]
	v_mul_f64 v[106:107], v[88:89], s[2:3]
	;; [unrolled: 1-line block ×3, first 2 shown]
	v_add_f64 v[62:63], v[14:15], v[62:63]
	v_add_f64 v[167:168], v[10:11], v[167:168]
	v_fma_f64 v[157:158], v[153:154], s[6:7], v[203:204]
	v_fma_f64 v[120:121], v[153:154], s[6:7], v[120:121]
	v_fma_f64 v[153:154], v[151:152], s[6:7], v[230:231]
	v_add_f64 v[50:51], v[250:251], v[234:235]
	v_mov_b32_e32 v252, v148
	v_fma_f64 v[124:125], v[42:43], s[2:3], v[124:125]
	v_fma_f64 v[42:43], v[42:43], s[10:11], v[46:47]
	;; [unrolled: 1-line block ×4, first 2 shown]
	v_mul_f64 v[24:25], v[24:25], s[18:19]
	v_fma_f64 v[70:71], v[88:89], s[14:15], v[70:71]
	v_fma_f64 v[92:93], v[151:152], s[6:7], v[92:93]
	;; [unrolled: 1-line block ×3, first 2 shown]
	v_mul_f64 v[30:31], v[30:31], s[16:17]
	v_fma_f64 v[76:77], v[102:103], s[6:7], v[76:77]
	v_fma_f64 v[102:103], v[102:103], s[6:7], v[110:111]
	;; [unrolled: 1-line block ×3, first 2 shown]
	v_mul_f64 v[175:176], v[131:132], s[0:1]
	v_fma_f64 v[110:111], v[98:99], s[6:7], v[114:115]
	v_fma_f64 v[80:81], v[193:194], s[0:1], v[80:81]
	v_mul_f64 v[46:47], v[48:49], s[2:3]
	v_add_f64 v[122:123], v[36:37], v[44:45]
	v_fma_f64 v[88:89], v[100:101], s[6:7], v[133:134]
	v_fma_f64 v[100:101], v[54:55], s[18:19], v[137:138]
	;; [unrolled: 1-line block ×19, first 2 shown]
	v_add_f64 v[169:170], v[12:13], v[169:170]
	v_fma_f64 v[106:107], v[68:69], s[14:15], v[106:107]
	v_fma_f64 v[137:138], v[54:55], s[0:1], v[56:57]
	v_add_f64 v[173:174], v[4:5], v[238:239]
	v_add_f64 v[4:5], v[201:202], v[191:192]
	v_add_f64 v[14:15], v[185:186], v[205:206]
	v_fma_f64 v[161:162], v[50:51], s[6:7], v[42:43]
	v_add_f64 v[40:41], v[153:154], -v[72:73]
	v_add_f64 v[42:43], v[153:154], v[72:73]
	v_fma_f64 v[153:154], v[22:23], s[0:1], v[24:25]
	v_add_f64 v[22:23], v[167:168], v[62:63]
	v_add_f64 v[24:25], v[90:91], v[70:71]
	v_add_f64 v[10:11], v[201:202], -v[191:192]
	v_add_f64 v[12:13], v[185:186], -v[205:206]
	v_add_f64 v[36:37], v[157:158], v[151:152]
	v_add_f64 v[38:39], v[157:158], -v[151:152]
	v_fma_f64 v[157:158], v[26:27], s[2:3], v[30:31]
	v_fma_f64 v[151:152], v[32:33], s[6:7], v[175:176]
	v_add_f64 v[32:33], v[62:63], -v[167:168]
	v_add_f64 v[26:27], v[76:77], v[88:89]
	v_add_f64 v[28:29], v[102:103], v[100:101]
	;; [unrolled: 1-line block ×4, first 2 shown]
	v_add_f64 v[48:49], v[58:59], -v[66:67]
	v_add_f64 v[58:59], v[90:91], -v[70:71]
	;; [unrolled: 1-line block ×5, first 2 shown]
	v_add_f64 v[70:71], v[96:97], v[165:166]
	v_add_f64 v[72:73], v[74:75], v[78:79]
	v_fma_f64 v[124:125], v[50:51], s[6:7], v[124:125]
	v_add_f64 v[44:45], v[92:93], v[80:81]
	v_add_f64 v[50:51], v[92:93], -v[80:81]
	v_add_f64 v[74:75], v[74:75], -v[78:79]
	v_add_f64 v[78:79], v[82:83], v[84:85]
	v_add_f64 v[80:81], v[86:87], v[131:132]
	v_add_f64 v[76:77], v[82:83], -v[84:85]
	v_add_f64 v[84:85], v[165:166], -v[96:97]
	v_add_f64 v[82:83], v[94:95], v[159:160]
	v_fma_f64 v[171:172], v[116:117], s[14:15], v[46:47]
	v_fma_f64 v[112:113], v[122:123], s[6:7], v[112:113]
	;; [unrolled: 1-line block ×3, first 2 shown]
	v_add_f64 v[86:87], v[86:87], -v[131:132]
	v_add_f64 v[88:89], v[94:95], -v[159:160]
	v_add_f64 v[46:47], v[120:121], v[118:119]
	v_mov_b32_e32 v251, v147
	v_mul_u32_u24_e32 v102, 10, v0
	v_dual_mov_b32 v245, v139 :: v_dual_mov_b32 v248, v146
	v_mov_b32_e32 v247, v145
	s_delay_alu instid0(VALU_DEP_4) | instskip(NEXT) | instid1(VALU_DEP_4)
	v_mul_i32_i24_e32 v103, 10, v251
	v_lshl_add_u32 v102, v102, 3, 0
	v_add_f64 v[52:53], v[120:121], -v[118:119]
	v_add_f64 v[54:55], v[169:170], v[214:215]
	v_add_f64 v[56:57], v[110:111], v[106:107]
	;; [unrolled: 1-line block ×4, first 2 shown]
	ds_store_b128 v102, v[2:5]
	ds_store_b128 v102, v[14:17] offset:16
	v_mul_i32_i24_e32 v2, 10, v247
	v_lshl_add_u32 v212, v103, 3, 0
	ds_store_b128 v102, v[6:9] offset:32
	ds_store_b128 v102, v[10:13] offset:48
	;; [unrolled: 1-line block ×3, first 2 shown]
	v_add_f64 v[92:93], v[214:215], -v[169:170]
	v_mad_i32_i24 v214, 0xffffffb8, v0, v102
	v_lshl_add_u32 v213, v2, 3, 0
	ds_store_b128 v212, v[22:25]
	ds_store_b128 v212, v[26:29] offset:16
	ds_store_b128 v212, v[30:33] offset:32
	;; [unrolled: 1-line block ×4, first 2 shown]
	ds_store_b128 v213, v[70:73]
	ds_store_b128 v213, v[78:81] offset:16
	ds_store_b128 v213, v[82:85] offset:32
	;; [unrolled: 1-line block ×3, first 2 shown]
	v_mul_lo_u16 v58, 0x67, v0
	v_lshl_add_u32 v215, v142, 3, 0
	v_lshl_add_u32 v216, v245, 3, 0
	;; [unrolled: 1-line block ×3, first 2 shown]
	v_add_f64 v[90:91], v[133:134], v[155:156]
	v_lshrrev_b16 v222, 10, v58
	v_add_f64 v[100:101], v[133:134], -v[155:156]
	v_mad_i32_i24 v133, 0xffffffb8, v251, v212
	v_lshl_add_u32 v218, v126, 3, 0
	v_mad_i32_i24 v139, 0xffffffb8, v247, v213
	v_mul_lo_u16 v58, v222, 10
	v_add_f64 v[94:95], v[110:111], -v[106:107]
	v_add_f64 v[96:97], v[98:99], -v[135:136]
	v_add_f64 v[98:99], v[108:109], -v[137:138]
	v_add_f64 v[116:117], v[173:174], v[228:229]
	v_add_f64 v[118:119], v[124:125], v[171:172]
	;; [unrolled: 1-line block ×5, first 2 shown]
	v_add_f64 v[169:170], v[228:229], -v[173:174]
	v_add_f64 v[171:172], v[124:125], -v[171:172]
	v_add_f64 v[173:174], v[112:113], -v[151:152]
	v_add_f64 v[175:176], v[122:123], -v[153:154]
	v_add_f64 v[177:178], v[161:162], -v[157:158]
	ds_store_b128 v213, v[86:89] offset:64
	s_waitcnt lgkmcnt(0)
	s_waitcnt_vscnt null, 0x0
	s_barrier
	buffer_gl0_inv
	ds_load_2addr_stride64_b64 v[2:5], v214 offset1:12
	ds_load_2addr_stride64_b64 v[6:9], v214 offset0:28 offset1:30
	ds_load_2addr_stride64_b64 v[122:125], v214 offset0:40 offset1:42
	ds_load_2addr_stride64_b64 v[10:13], v214 offset0:48 offset1:50
	ds_load_2addr_stride64_b64 v[18:21], v214 offset0:18 offset1:22
	ds_load_2addr_stride64_b64 v[108:111], v214 offset0:32 offset1:34
	ds_load_2addr_stride64_b64 v[104:107], v214 offset0:52 offset1:54
	ds_load_b64 v[151:152], v133
	ds_load_b64 v[153:154], v139
	ds_load_2addr_stride64_b64 v[112:115], v214 offset0:14 offset1:16
	ds_load_2addr_stride64_b64 v[22:25], v214 offset0:24 offset1:26
	;; [unrolled: 1-line block ×5, first 2 shown]
	ds_load_b64 v[161:162], v215
	ds_load_b64 v[159:160], v216
	;; [unrolled: 1-line block ×4, first 2 shown]
	s_waitcnt lgkmcnt(0)
	s_barrier
	buffer_gl0_inv
	ds_store_b128 v102, v[34:37]
	ds_store_b128 v102, v[42:45] offset:16
	ds_store_b128 v102, v[46:49] offset:32
	;; [unrolled: 1-line block ×3, first 2 shown]
	v_sub_nc_u16 v34, v0, v58
	ds_store_b128 v102, v[50:53] offset:64
	ds_store_b128 v212, v[54:57]
	ds_store_b128 v212, v[62:65] offset:16
	ds_store_b128 v212, v[90:93] offset:32
	;; [unrolled: 1-line block ×4, first 2 shown]
	v_and_b32_e32 v224, 0xff, v34
	v_and_b32_e32 v219, 0xffff, v247
	ds_store_b128 v213, v[116:119]
	ds_store_b128 v213, v[163:166] offset:16
	v_mul_u32_u24_e32 v35, 5, v224
	ds_store_b128 v213, v[167:170] offset:32
	ds_store_b128 v213, v[171:174] offset:48
	v_and_b32_e32 v220, 0xffff, v128
	v_dual_mov_b32 v253, v144 :: v_dual_lshlrev_b32 v54, 4, v35
	v_and_b32_e32 v244, 0xff, v251
	ds_store_b128 v213, v[175:178] offset:64
	s_waitcnt lgkmcnt(0)
	s_barrier
	buffer_gl0_inv
	v_mul_lo_u16 v59, 0xcd, v244
	global_load_b128 v[116:119], v54, s[4:5] offset:48
	v_and_b32_e32 v221, 0xffff, v126
	v_and_b32_e32 v138, 0xffff, v222
	s_mov_b32 s2, 0xe8584caa
	v_lshrrev_b16 v223, 11, v59
	s_mov_b32 s3, 0xbfebb67a
	s_mov_b32 s1, 0x3febb67a
	v_mul_u32_u24_e32 v138, 0x1e0, v138
	s_mov_b32 s0, s2
	v_mul_lo_u16 v34, v223, 10
	v_lshlrev_b64 v[147:148], 4, v[142:143]
	s_delay_alu instid0(VALU_DEP_2) | instskip(NEXT) | instid1(VALU_DEP_1)
	v_sub_nc_u16 v34, v251, v34
	v_and_b32_e32 v225, 0xff, v34
	s_delay_alu instid0(VALU_DEP_1) | instskip(SKIP_2) | instid1(VALU_DEP_3)
	v_mul_u32_u24_e32 v34, 5, v225
	v_dual_mov_b32 v249, v149 :: v_dual_mov_b32 v150, v127
	v_mul_u32_u24_e32 v36, 0xcccd, v219
	v_dual_mov_b32 v149, v126 :: v_dual_lshlrev_b32 v34, 4, v34
	s_delay_alu instid0(VALU_DEP_2) | instskip(SKIP_4) | instid1(VALU_DEP_2)
	v_lshrrev_b32_e32 v227, 19, v36
	v_mul_u32_u24_e32 v36, 0xcccd, v221
	global_load_b128 v[163:166], v34, s[4:5] offset:48
	v_mul_lo_u16 v35, v227, 10
	v_lshrrev_b32_e32 v229, 19, v36
	v_sub_nc_u16 v35, v247, v35
	s_delay_alu instid0(VALU_DEP_1) | instskip(NEXT) | instid1(VALU_DEP_1)
	v_and_b32_e32 v226, 0xffff, v35
	v_mul_u32_u24_e32 v35, 5, v226
	s_delay_alu instid0(VALU_DEP_1)
	v_lshlrev_b32_e32 v42, 4, v35
	v_mul_u32_u24_e32 v35, 0xcccd, v220
	s_clause 0x3
	global_load_b128 v[169:172], v34, s[4:5] offset:32
	global_load_b128 v[175:178], v42, s[4:5] offset:32
	;; [unrolled: 1-line block ×4, first 2 shown]
	v_lshrrev_b32_e32 v228, 19, v35
	s_delay_alu instid0(VALU_DEP_1) | instskip(NEXT) | instid1(VALU_DEP_1)
	v_mul_lo_u16 v35, v228, 10
	v_sub_nc_u16 v35, v128, v35
	s_delay_alu instid0(VALU_DEP_1) | instskip(SKIP_1) | instid1(VALU_DEP_2)
	v_and_b32_e32 v230, 0xffff, v35
	v_mul_lo_u16 v35, v229, 10
	v_mul_u32_u24_e32 v36, 5, v230
	s_delay_alu instid0(VALU_DEP_2) | instskip(NEXT) | instid1(VALU_DEP_2)
	v_sub_nc_u16 v35, v126, v35
	v_lshlrev_b32_e32 v43, 4, v36
	s_clause 0x1
	global_load_b128 v[232:235], v42, s[4:5]
	global_load_b128 v[236:239], v43, s[4:5]
	v_and_b32_e32 v231, 0xffff, v35
	global_load_b128 v[74:77], v43, s[4:5] offset:32
	v_mul_u32_u24_e32 v35, 5, v231
	s_delay_alu instid0(VALU_DEP_1)
	v_lshlrev_b32_e32 v55, 4, v35
	s_clause 0xf
	global_load_b128 v[70:73], v55, s[4:5] offset:32
	global_load_b128 v[82:85], v54, s[4:5] offset:32
	;; [unrolled: 1-line block ×5, first 2 shown]
	global_load_b128 v[90:93], v54, s[4:5]
	global_load_b128 v[66:69], v34, s[4:5]
	global_load_b128 v[86:89], v55, s[4:5]
	global_load_b128 v[46:49], v34, s[4:5] offset:16
	global_load_b128 v[38:41], v42, s[4:5] offset:16
	;; [unrolled: 1-line block ×8, first 2 shown]
	ds_load_2addr_stride64_b64 v[179:182], v214 offset0:40 offset1:42
	ds_load_2addr_stride64_b64 v[195:198], v214 offset0:32 offset1:34
	;; [unrolled: 1-line block ×3, first 2 shown]
	s_waitcnt vmcnt(24) lgkmcnt(2)
	v_mul_f64 v[102:103], v[179:180], v[118:119]
	v_mul_f64 v[131:132], v[122:123], v[118:119]
	ds_load_2addr_stride64_b64 v[240:243], v214 offset0:14 offset1:16
	ds_load_2addr_stride64_b64 v[118:121], v214 offset0:36 offset1:38
	s_waitcnt vmcnt(23)
	v_mul_f64 v[134:135], v[181:182], v[165:166]
	v_mul_f64 v[136:137], v[124:125], v[165:166]
	v_fma_f64 v[173:174], v[122:123], v[116:117], v[102:103]
	v_fma_f64 v[165:166], v[179:180], v[116:117], -v[131:132]
	s_waitcnt vmcnt(22) lgkmcnt(3)
	v_mul_f64 v[191:192], v[195:196], v[171:172]
	s_waitcnt vmcnt(21)
	v_mul_f64 v[199:200], v[197:198], v[177:178]
	v_mul_f64 v[171:172], v[108:109], v[171:172]
	;; [unrolled: 1-line block ×3, first 2 shown]
	s_waitcnt vmcnt(20) lgkmcnt(2)
	v_mul_f64 v[201:202], v[205:206], v[185:186]
	v_mul_f64 v[102:103], v[104:105], v[185:186]
	s_waitcnt vmcnt(19)
	v_mul_f64 v[116:117], v[207:208], v[189:190]
	v_mul_f64 v[131:132], v[106:107], v[189:190]
	v_fma_f64 v[167:168], v[124:125], v[163:164], v[134:135]
	v_fma_f64 v[163:164], v[181:182], v[163:164], -v[136:137]
	ds_load_2addr_stride64_b64 v[122:125], v214 offset0:56 offset1:58
	s_waitcnt vmcnt(18) lgkmcnt(2)
	v_mul_f64 v[134:135], v[240:241], v[234:235]
	v_mul_f64 v[136:137], v[112:113], v[234:235]
	s_waitcnt vmcnt(17)
	v_mul_f64 v[185:186], v[242:243], v[238:239]
	s_waitcnt vmcnt(16) lgkmcnt(1)
	v_mul_f64 v[189:190], v[118:119], v[76:77]
	v_mul_f64 v[193:194], v[30:31], v[76:77]
	s_waitcnt vmcnt(13)
	v_mul_f64 v[203:204], v[12:13], v[80:81]
	v_fma_f64 v[179:180], v[108:109], v[169:170], v[191:192]
	v_fma_f64 v[181:182], v[110:111], v[175:176], v[199:200]
	v_mul_f64 v[199:200], v[8:9], v[84:85]
	v_fma_f64 v[169:170], v[195:196], v[169:170], -v[171:172]
	v_mul_f64 v[195:196], v[120:121], v[72:73]
	v_fma_f64 v[171:172], v[197:198], v[175:176], -v[177:178]
	v_mul_f64 v[197:198], v[32:33], v[72:73]
	s_waitcnt vmcnt(11)
	v_mul_f64 v[209:210], v[28:29], v[96:97]
	v_fma_f64 v[175:176], v[104:105], v[183:184], v[201:202]
	v_mul_f64 v[201:202], v[26:27], v[100:101]
	v_mul_f64 v[234:235], v[114:115], v[238:239]
	v_fma_f64 v[72:73], v[205:206], v[183:184], -v[102:103]
	ds_load_2addr_stride64_b64 v[102:105], v214 offset0:28 offset1:30
	v_fma_f64 v[177:178], v[106:107], v[187:188], v[116:117]
	ds_load_2addr_stride64_b64 v[106:109], v214 offset0:48 offset1:50
	ds_load_b64 v[191:192], v215
	v_fma_f64 v[76:77], v[207:208], v[187:188], -v[131:132]
	s_waitcnt lgkmcnt(3)
	v_mul_f64 v[207:208], v[122:123], v[100:101]
	v_mul_f64 v[205:206], v[124:125], v[96:97]
	v_fma_f64 v[183:184], v[112:113], v[232:233], v[134:135]
	ds_load_2addr_stride64_b64 v[110:113], v214 offset0:18 offset1:22
	v_fma_f64 v[100:101], v[240:241], v[232:233], -v[136:137]
	s_waitcnt lgkmcnt(3)
	v_mul_f64 v[84:85], v[104:105], v[84:85]
	v_fma_f64 v[136:137], v[30:31], v[74:75], v[189:190]
	v_fma_f64 v[74:75], v[118:119], v[74:75], -v[193:194]
	s_waitcnt vmcnt(10)
	v_mul_f64 v[193:194], v[161:162], v[92:93]
	s_waitcnt lgkmcnt(2)
	v_mul_f64 v[80:81], v[108:109], v[80:81]
	v_fma_f64 v[104:105], v[104:105], v[82:83], -v[199:200]
	v_fma_f64 v[108:109], v[108:109], v[78:79], -v[203:204]
	v_fma_f64 v[195:196], v[32:33], v[70:71], v[195:196]
	s_waitcnt lgkmcnt(1)
	v_mul_f64 v[92:93], v[191:192], v[92:93]
	s_waitcnt vmcnt(9)
	v_mul_f64 v[199:200], v[4:5], v[68:69]
	v_fma_f64 v[70:71], v[120:121], v[70:71], -v[197:198]
	v_fma_f64 v[124:125], v[124:125], v[94:95], -v[209:210]
	v_fma_f64 v[122:123], v[122:123], v[98:99], -v[201:202]
	v_fma_f64 v[185:186], v[114:115], v[236:237], v[185:186]
	ds_load_2addr_stride64_b64 v[114:117], v214 offset0:24 offset1:26
	v_fma_f64 v[96:97], v[242:243], v[236:237], -v[234:235]
	s_clause 0x1
	scratch_load_b64 v[242:243], off, off offset:16
	scratch_load_b64 v[126:127], off, off offset:8
	ds_load_b64 v[187:188], v216
	ds_load_b64 v[131:132], v217
	;; [unrolled: 1-line block ×3, first 2 shown]
	s_waitcnt vmcnt(10) lgkmcnt(4)
	v_mul_f64 v[197:198], v[110:111], v[88:89]
	v_mul_f64 v[88:89], v[18:19], v[88:89]
	ds_load_2addr_stride64_b64 v[30:33], v214 offset0:44 offset1:46
	ds_load_2addr_stride64_b64 v[118:121], v214 offset1:12
	scratch_load_b64 v[145:146], off, off offset:24 ; 8-byte Folded Reload
	s_waitcnt vmcnt(10)
	v_mul_f64 v[201:202], v[112:113], v[48:49]
	v_fma_f64 v[26:27], v[26:27], v[98:99], v[207:208]
	v_fma_f64 v[28:29], v[28:29], v[94:95], v[205:206]
	v_mov_b32_e32 v240, v140
	v_mul_u32_u24_e32 v209, 0x1e0, v229
	v_lshlrev_b32_e32 v210, 3, v231
	v_mov_b32_e32 v140, v141
	v_lshl_add_u32 v190, v130, 3, 0
	s_waitcnt vmcnt(9) lgkmcnt(5)
	v_mul_f64 v[98:99], v[114:115], v[40:41]
	s_waitcnt vmcnt(8)
	v_mul_f64 v[94:95], v[116:117], v[36:37]
	s_waitcnt vmcnt(5) lgkmcnt(4)
	v_mul_f64 v[207:208], v[187:188], v[64:65]
	v_mul_f64 v[64:65], v[159:160], v[64:65]
	v_fma_f64 v[8:9], v[8:9], v[82:83], v[84:85]
	s_waitcnt vmcnt(4)
	v_mul_f64 v[82:83], v[102:103], v[60:61]
	s_waitcnt lgkmcnt(1)
	v_mul_f64 v[203:204], v[30:31], v[52:53]
	v_mul_f64 v[205:206], v[32:33], v[44:45]
	s_waitcnt vmcnt(3)
	v_mul_f64 v[84:85], v[106:107], v[56:57]
	v_fma_f64 v[12:13], v[12:13], v[78:79], v[80:81]
	v_fma_f64 v[78:79], v[191:192], v[90:91], -v[193:194]
	v_add_f64 v[80:81], v[104:105], v[108:109]
	s_waitcnt lgkmcnt(0)
	v_mul_f64 v[68:69], v[120:121], v[68:69]
	v_fma_f64 v[90:91], v[161:162], v[90:91], v[92:93]
	v_fma_f64 v[92:93], v[120:121], v[66:67], -v[199:200]
	v_add_f64 v[120:121], v[169:170], v[72:73]
	v_add_f64 v[161:162], v[171:172], v[76:77]
	v_and_b32_e32 v193, 0xffff, v223
	v_lshlrev_b32_e32 v194, 3, v224
	v_mul_f64 v[40:41], v[22:23], v[40:41]
	v_mul_f64 v[56:57], v[10:11], v[56:57]
	v_mul_u32_u24_e32 v199, 0x1e0, v228
	v_fma_f64 v[18:19], v[18:19], v[86:87], v[197:198]
	v_fma_f64 v[86:87], v[110:111], v[86:87], -v[88:89]
	v_add_f64 v[110:111], v[70:71], v[124:125]
	v_add_f64 v[88:89], v[74:75], v[122:123]
	v_mul_u32_u24_e32 v193, 0x1e0, v193
	v_add3_u32 v138, 0, v138, v194
	v_lshlrev_b32_e32 v194, 3, v225
	v_fma_f64 v[191:192], v[20:21], v[46:47], v[201:202]
	v_mul_f64 v[20:21], v[20:21], v[48:49]
	v_mul_u32_u24_e32 v197, 0x1e0, v227
	v_lshlrev_b32_e32 v198, 3, v226
	v_add3_u32 v224, 0, v193, v194
	v_add_f64 v[193:194], v[195:196], -v[28:29]
	v_lshlrev_b32_e32 v200, 3, v230
	v_add3_u32 v227, 0, v209, v210
	v_add3_u32 v225, 0, v197, v198
	v_fma_f64 v[22:23], v[22:23], v[38:39], v[98:99]
	v_fma_f64 v[48:49], v[24:25], v[34:35], v[94:95]
	v_mul_f64 v[24:25], v[24:25], v[36:37]
	v_mul_f64 v[36:37], v[14:15], v[52:53]
	v_add_f64 v[98:99], v[181:182], v[177:178]
	v_add3_u32 v226, 0, v199, v200
	v_fma_f64 v[14:15], v[14:15], v[50:51], v[203:204]
	v_fma_f64 v[52:53], v[16:17], v[42:43], v[205:206]
	v_mul_f64 v[16:17], v[16:17], v[44:45]
	v_mul_f64 v[44:45], v[6:7], v[60:61]
	v_fma_f64 v[60:61], v[159:160], v[62:63], v[207:208]
	v_fma_f64 v[6:7], v[6:7], v[58:59], v[82:83]
	;; [unrolled: 1-line block ×3, first 2 shown]
	v_add_f64 v[82:83], v[8:9], v[12:13]
	v_add_f64 v[84:85], v[8:9], -v[12:13]
	v_fma_f64 v[80:81], v[80:81], -0.5, v[78:79]
	v_fma_f64 v[4:5], v[4:5], v[66:67], v[68:69]
	v_add_f64 v[66:67], v[179:180], v[175:176]
	v_add_f64 v[68:69], v[179:180], -v[175:176]
	v_fma_f64 v[94:95], v[120:121], -0.5, v[92:93]
	v_add_f64 v[120:121], v[181:182], -v[177:178]
	v_fma_f64 v[159:160], v[161:162], -0.5, v[100:101]
	v_fma_f64 v[62:63], v[187:188], v[62:63], -v[64:65]
	v_add_f64 v[187:188], v[195:196], v[28:29]
	v_fma_f64 v[110:111], v[110:111], -0.5, v[86:87]
	v_add_f64 v[64:65], v[136:137], v[26:27]
	v_add_f64 v[161:162], v[136:137], -v[26:27]
	v_fma_f64 v[88:89], v[88:89], -0.5, v[96:97]
	v_fma_f64 v[38:39], v[114:115], v[38:39], -v[40:41]
	v_add_f64 v[8:9], v[90:91], v[8:9]
	v_fma_f64 v[20:21], v[112:113], v[46:47], -v[20:21]
	v_add_f64 v[181:182], v[183:184], v[181:182]
	v_add_f64 v[136:137], v[185:186], v[136:137]
	;; [unrolled: 1-line block ×4, first 2 shown]
	ds_load_b64 v[209:210], v133
	ds_load_b64 v[222:223], v139
	s_waitcnt vmcnt(0) lgkmcnt(0)
	s_barrier
	buffer_gl0_inv
	v_fma_f64 v[24:25], v[116:117], v[34:35], -v[24:25]
	v_fma_f64 v[30:31], v[30:31], v[50:51], -v[36:37]
	;; [unrolled: 1-line block ×3, first 2 shown]
	v_add_f64 v[116:117], v[70:71], -v[124:125]
	v_add_f64 v[46:47], v[22:23], v[14:15]
	v_add_f64 v[50:51], v[48:49], v[52:53]
	v_fma_f64 v[16:17], v[32:33], v[42:43], -v[16:17]
	v_fma_f64 v[32:33], v[102:103], v[58:59], -v[44:45]
	v_add_f64 v[36:37], v[60:61], v[173:174]
	v_add_f64 v[42:43], v[104:105], -v[108:109]
	v_add_f64 v[44:45], v[191:192], v[167:168]
	v_add_f64 v[54:55], v[6:7], v[10:11]
	v_fma_f64 v[56:57], v[82:83], -0.5, v[90:91]
	v_fma_f64 v[58:59], v[84:85], s[0:1], v[80:81]
	v_fma_f64 v[80:81], v[84:85], s[2:3], v[80:81]
	v_add_f64 v[82:83], v[169:170], -v[72:73]
	v_fma_f64 v[66:67], v[66:67], -0.5, v[4:5]
	v_fma_f64 v[84:85], v[68:69], s[0:1], v[94:95]
	v_fma_f64 v[68:69], v[68:69], s[2:3], v[94:95]
	v_fma_f64 v[94:95], v[98:99], -0.5, v[183:184]
	v_fma_f64 v[98:99], v[120:121], s[0:1], v[159:160]
	v_fma_f64 v[112:113], v[120:121], s[2:3], v[159:160]
	;; [unrolled: 3-line block ×3, first 2 shown]
	v_add_f64 v[102:103], v[171:172], -v[76:77]
	v_add_f64 v[106:107], v[74:75], -v[122:123]
	v_fma_f64 v[64:65], v[64:65], -0.5, v[185:186]
	v_fma_f64 v[114:115], v[161:162], s[0:1], v[88:89]
	v_fma_f64 v[88:89], v[161:162], s[2:3], v[88:89]
	v_add_f64 v[40:41], v[2:3], v[60:61]
	v_add_f64 v[90:91], v[62:63], -v[165:166]
	v_add_f64 v[161:162], v[151:152], v[191:192]
	v_add_f64 v[4:5], v[4:5], v[179:180]
	v_add_f64 v[179:180], v[20:21], -v[163:164]
	v_add_f64 v[183:184], v[153:154], v[22:23]
	v_add_f64 v[185:186], v[155:156], v[48:49]
	;; [unrolled: 1-line block ×4, first 2 shown]
	v_add_f64 v[187:188], v[38:39], -v[30:31]
	v_add_f64 v[60:61], v[60:61], -v[173:174]
	v_add_f64 v[8:9], v[8:9], v[12:13]
	v_add_f64 v[26:27], v[136:137], v[26:27]
	v_add_f64 v[191:192], v[191:192], -v[167:168]
	v_add_f64 v[193:194], v[24:25], -v[16:17]
	;; [unrolled: 1-line block ×3, first 2 shown]
	v_fma_f64 v[2:3], v[36:37], -0.5, v[2:3]
	v_add_f64 v[169:170], v[38:39], v[30:31]
	v_fma_f64 v[36:37], v[44:45], -0.5, v[151:152]
	v_fma_f64 v[44:45], v[46:47], -0.5, v[153:154]
	;; [unrolled: 1-line block ×4, first 2 shown]
	v_fma_f64 v[54:55], v[42:43], s[2:3], v[56:57]
	v_mul_f64 v[151:152], v[58:59], s[2:3]
	v_fma_f64 v[42:43], v[42:43], s[0:1], v[56:57]
	v_mul_f64 v[56:57], v[80:81], s[2:3]
	;; [unrolled: 2-line block ×4, first 2 shown]
	v_fma_f64 v[205:206], v[116:117], s[2:3], v[120:121]
	v_fma_f64 v[116:117], v[116:117], s[0:1], v[120:121]
	v_mul_f64 v[120:121], v[110:111], s[2:3]
	v_fma_f64 v[157:158], v[102:103], s[2:3], v[94:95]
	v_mul_f64 v[199:200], v[98:99], s[2:3]
	v_fma_f64 v[94:95], v[102:103], s[0:1], v[94:95]
	v_mul_f64 v[102:103], v[112:113], s[2:3]
	v_fma_f64 v[201:202], v[106:107], s[2:3], v[64:65]
	v_mul_f64 v[203:204], v[114:115], s[2:3]
	v_fma_f64 v[64:65], v[106:107], s[0:1], v[64:65]
	v_mul_f64 v[106:107], v[88:89], s[2:3]
	v_mul_f64 v[207:208], v[159:160], s[2:3]
	v_add_f64 v[12:13], v[40:41], v[173:174]
	v_add_f64 v[4:5], v[4:5], v[175:176]
	;; [unrolled: 1-line block ×9, first 2 shown]
	v_add_f64 v[14:15], v[22:23], -v[14:15]
	v_add_f64 v[22:23], v[100:101], v[171:172]
	v_add_f64 v[100:101], v[24:25], v[16:17]
	v_fma_f64 v[173:174], v[90:91], s[2:3], v[2:3]
	v_fma_f64 v[2:3], v[90:91], s[0:1], v[2:3]
	v_fma_f64 v[90:91], v[179:180], s[2:3], v[36:37]
	v_fma_f64 v[175:176], v[187:188], s[2:3], v[44:45]
	v_fma_f64 v[44:45], v[187:188], s[0:1], v[44:45]
	v_fma_f64 v[183:184], v[197:198], s[2:3], v[50:51]
	v_add_f64 v[187:188], v[62:63], v[165:166]
	v_fma_f64 v[151:152], v[54:55], 0.5, v[151:152]
	v_fma_f64 v[50:51], v[197:198], s[0:1], v[50:51]
	v_fma_f64 v[56:57], v[42:43], -0.5, v[56:57]
	v_fma_f64 v[36:37], v[179:180], s[0:1], v[36:37]
	v_fma_f64 v[155:156], v[153:154], 0.5, v[155:156]
	v_fma_f64 v[179:180], v[193:194], s[2:3], v[46:47]
	v_fma_f64 v[82:83], v[66:67], -0.5, v[82:83]
	v_fma_f64 v[46:47], v[193:194], s[0:1], v[46:47]
	v_add_f64 v[62:63], v[118:119], v[62:63]
	v_fma_f64 v[120:121], v[116:117], -0.5, v[120:121]
	v_add_f64 v[171:172], v[32:33], v[34:35]
	v_fma_f64 v[177:178], v[157:158], 0.5, v[199:200]
	v_mul_f64 v[58:59], v[58:59], 0.5
	v_fma_f64 v[102:103], v[94:95], -0.5, v[102:103]
	v_add_f64 v[74:75], v[96:97], v[74:75]
	v_fma_f64 v[181:182], v[201:202], 0.5, v[203:204]
	v_mul_f64 v[80:81], v[80:81], -0.5
	v_fma_f64 v[106:107], v[64:65], -0.5, v[106:107]
	v_fma_f64 v[185:186], v[205:206], 0.5, v[207:208]
	v_add_f64 v[193:194], v[12:13], v[8:9]
	v_add_f64 v[8:9], v[12:13], -v[8:9]
	v_add_f64 v[20:21], v[209:210], v[20:21]
	v_add_f64 v[12:13], v[104:105], v[4:5]
	v_add_f64 v[4:5], v[104:105], -v[4:5]
	v_add_f64 v[104:105], v[161:162], v[40:41]
	v_add_f64 v[40:41], v[161:162], -v[40:41]
	;; [unrolled: 2-line block ×4, first 2 shown]
	v_mul_f64 v[84:85], v[84:85], 0.5
	v_mul_f64 v[68:69], v[68:69], -0.5
	v_add_f64 v[38:39], v[222:223], v[38:39]
	v_add_f64 v[78:79], v[78:79], v[108:109]
	v_fma_f64 v[108:109], v[169:170], -0.5, v[222:223]
	v_mul_f64 v[98:99], v[98:99], 0.5
	v_add_f64 v[48:49], v[48:49], -v[52:53]
	v_fma_f64 v[96:97], v[187:188], -0.5, v[118:119]
	v_add_f64 v[195:196], v[173:174], v[151:152]
	v_add_f64 v[151:152], v[173:174], -v[151:152]
	v_add_f64 v[173:174], v[2:3], v[56:57]
	v_add_f64 v[2:3], v[2:3], -v[56:57]
	;; [unrolled: 2-line block ×4, first 2 shown]
	v_add_f64 v[118:119], v[62:63], v[165:166]
	v_add_f64 v[28:29], v[50:51], v[120:121]
	v_fma_f64 v[62:63], v[167:168], -0.5, v[209:210]
	v_add_f64 v[82:83], v[175:176], v[177:178]
	v_add_f64 v[175:176], v[175:176], -v[177:178]
	v_add_f64 v[177:178], v[44:45], v[102:103]
	v_add_f64 v[44:45], v[44:45], -v[102:103]
	;; [unrolled: 2-line block ×5, first 2 shown]
	v_add_f64 v[50:51], v[50:51], -v[120:121]
	v_mul_f64 v[112:113], v[112:113], -0.5
	v_add_f64 v[24:25], v[131:132], v[24:25]
	v_add_f64 v[32:33], v[134:135], v[32:33]
	v_fma_f64 v[100:101], v[100:101], -0.5, v[131:132]
	v_fma_f64 v[120:121], v[171:172], -0.5, v[134:135]
	v_mul_f64 v[114:115], v[114:115], 0.5
	v_mul_f64 v[88:89], v[88:89], -0.5
	ds_store_2addr_b64 v138, v[193:194], v[195:196] offset1:10
	ds_store_2addr_b64 v138, v[173:174], v[8:9] offset0:20 offset1:30
	ds_store_2addr_b64 v138, v[151:152], v[2:3] offset0:40 offset1:50
	ds_store_2addr_b64 v224, v[12:13], v[56:57] offset1:10
	ds_store_2addr_b64 v224, v[155:156], v[4:5] offset0:20 offset1:30
	ds_store_2addr_b64 v224, v[90:91], v[36:37] offset0:40 offset1:50
	;; [unrolled: 3-line block ×4, first 2 shown]
	ds_store_2addr_b64 v227, v[136:137], v[106:107] offset1:10
	v_add_f64 v[2:3], v[6:7], -v[10:11]
	v_mul_f64 v[6:7], v[159:160], 0.5
	v_mul_f64 v[8:9], v[110:111], -0.5
	v_add_f64 v[4:5], v[86:87], v[70:71]
	ds_store_2addr_b64 v227, v[28:29], v[18:19] offset0:20 offset1:30
	v_fma_f64 v[10:11], v[54:55], s[0:1], v[58:59]
	v_fma_f64 v[12:13], v[60:61], s[0:1], v[96:97]
	;; [unrolled: 1-line block ×4, first 2 shown]
	v_add_f64 v[20:21], v[20:21], v[163:164]
	v_fma_f64 v[28:29], v[191:192], s[0:1], v[62:63]
	v_add_f64 v[36:37], v[92:93], v[72:73]
	v_fma_f64 v[40:41], v[191:192], s[2:3], v[62:63]
	v_fma_f64 v[42:43], v[153:154], s[0:1], v[84:85]
	;; [unrolled: 1-line block ×3, first 2 shown]
	v_add_f64 v[30:31], v[38:39], v[30:31]
	v_fma_f64 v[38:39], v[14:15], s[0:1], v[108:109]
	v_add_f64 v[22:23], v[22:23], v[76:77]
	v_fma_f64 v[46:47], v[157:158], s[0:1], v[98:99]
	ds_store_2addr_b64 v227, v[52:53], v[50:51] offset0:40 offset1:50
	v_fma_f64 v[14:15], v[14:15], s[2:3], v[108:109]
	v_fma_f64 v[50:51], v[94:95], s[0:1], v[112:113]
	v_add_f64 v[16:17], v[24:25], v[16:17]
	v_fma_f64 v[24:25], v[48:49], s[0:1], v[100:101]
	v_add_f64 v[52:53], v[74:75], v[122:123]
	v_fma_f64 v[48:49], v[48:49], s[2:3], v[100:101]
	v_fma_f64 v[74:75], v[201:202], s[0:1], v[114:115]
	;; [unrolled: 1-line block ×3, first 2 shown]
	v_add_f64 v[32:33], v[32:33], v[34:35]
	v_add_f64 v[85:86], v[118:119], v[78:79]
	v_add_f64 v[89:90], v[118:119], -v[78:79]
	v_mul_lo_u16 v83, 0x89, v244
	v_mul_u32_u24_e32 v82, 0x8889, v219
	v_lshl_add_u32 v169, v249, 3, 0
	v_lshl_add_u32 v170, v253, 3, 0
	;; [unrolled: 1-line block ×3, first 2 shown]
	v_lshrrev_b16 v84, 13, v83
	v_lshl_add_u32 v166, v140, 3, 0
	v_fma_f64 v[34:35], v[2:3], s[0:1], v[120:121]
	v_fma_f64 v[2:3], v[2:3], s[2:3], v[120:121]
	;; [unrolled: 1-line block ×4, first 2 shown]
	v_add_f64 v[4:5], v[4:5], v[124:125]
	s_waitcnt lgkmcnt(0)
	v_add_f64 v[87:88], v[12:13], v[10:11]
	v_add_f64 v[93:94], v[12:13], -v[10:11]
	v_add_f64 v[91:92], v[18:19], v[26:27]
	v_add_f64 v[26:27], v[18:19], -v[26:27]
	v_lshl_add_u32 v168, v242, 3, 0
	v_add_f64 v[95:96], v[20:21], v[36:37]
	v_add_f64 v[36:37], v[20:21], -v[36:37]
	v_add_f64 v[97:98], v[28:29], v[42:43]
	v_add_f64 v[28:29], v[28:29], -v[42:43]
	v_add_f64 v[101:102], v[40:41], -v[44:45]
	v_add_f64 v[99:100], v[40:41], v[44:45]
	v_mov_b32_e32 v241, v126
	v_add_f64 v[103:104], v[30:31], v[22:23]
	v_add_f64 v[105:106], v[38:39], v[46:47]
	v_add_f64 v[30:31], v[30:31], -v[22:23]
	v_add_f64 v[107:108], v[14:15], v[50:51]
	v_lshl_add_u32 v167, v241, 3, 0
	v_add_f64 v[46:47], v[38:39], -v[46:47]
	v_add_f64 v[50:51], v[14:15], -v[50:51]
	v_add_f64 v[109:110], v[16:17], v[52:53]
	v_add_f64 v[52:53], v[16:17], -v[52:53]
	v_add_f64 v[113:114], v[24:25], -v[74:75]
	v_add_f64 v[115:116], v[48:49], v[76:77]
	v_add_f64 v[48:49], v[48:49], -v[76:77]
	v_lshl_add_u32 v189, v145, 3, 0
	v_add_f64 v[111:112], v[24:25], v[74:75]
	s_barrier
	buffer_gl0_inv
	ds_load_b64 v[64:65], v133
	ds_load_b64 v[66:67], v139
	;; [unrolled: 1-line block ×10, first 2 shown]
	v_mul_u32_u24_e32 v178, 0x8889, v220
	v_mul_u32_u24_e32 v179, 0x8889, v221
	v_and_b32_e32 v236, 0xffff, v84
	v_cmp_gt_u32_e64 s0, 0x78, v0
	v_add_f64 v[119:120], v[34:35], v[6:7]
	v_add_f64 v[34:35], v[34:35], -v[6:7]
	v_add_f64 v[123:124], v[2:3], -v[8:9]
	v_add_f64 v[117:118], v[32:33], v[4:5]
	v_add_f64 v[32:33], v[32:33], -v[4:5]
	v_add_f64 v[121:122], v[2:3], v[8:9]
	ds_load_b64 v[74:75], v167
	ds_load_b64 v[76:77], v168
	;; [unrolled: 1-line block ×4, first 2 shown]
	ds_load_2addr_stride64_b64 v[2:5], v214 offset1:30
	ds_load_2addr_stride64_b64 v[42:45], v214 offset0:32 offset1:34
	ds_load_2addr_stride64_b64 v[38:41], v214 offset0:36 offset1:38
	;; [unrolled: 1-line block ×7, first 2 shown]
	s_waitcnt lgkmcnt(0)
	s_barrier
	buffer_gl0_inv
	ds_store_2addr_b64 v138, v[85:86], v[87:88] offset1:10
	ds_store_2addr_b64 v138, v[91:92], v[89:90] offset0:20 offset1:30
	ds_store_2addr_b64 v138, v[93:94], v[26:27] offset0:40 offset1:50
	v_mul_lo_u16 v26, v84, 60
	v_lshrrev_b32_e32 v86, 21, v82
	v_lshrrev_b32_e32 v90, 21, v178
	;; [unrolled: 1-line block ×3, first 2 shown]
	ds_store_2addr_b64 v224, v[95:96], v[97:98] offset1:10
	ds_store_2addr_b64 v224, v[99:100], v[36:37] offset0:20 offset1:30
	v_sub_nc_u16 v26, v251, v26
	v_mul_lo_u16 v27, v86, 60
	ds_store_2addr_b64 v224, v[28:29], v[101:102] offset0:40 offset1:50
	v_mul_lo_u16 v28, v91, 60
	ds_store_2addr_b64 v225, v[103:104], v[105:106] offset1:10
	ds_store_2addr_b64 v225, v[107:108], v[30:31] offset0:20 offset1:30
	v_and_b32_e32 v85, 0xff, v26
	v_sub_nc_u16 v26, v247, v27
	v_mul_lo_u16 v27, v90, 60
	v_and_b32_e32 v30, 0xffff, v130
	ds_store_2addr_b64 v225, v[46:47], v[50:51] offset0:40 offset1:50
	ds_store_2addr_b64 v226, v[109:110], v[111:112] offset1:10
	v_and_b32_e32 v87, 0xffff, v26
	v_sub_nc_u16 v26, v128, v27
	v_sub_nc_u16 v27, v149, v28
	v_lshlrev_b32_e32 v29, 4, v85
	v_mul_u32_u24_e32 v172, 0x8889, v30
	ds_store_2addr_b64 v226, v[115:116], v[52:53] offset0:20 offset1:30
	v_and_b32_e32 v88, 0xffff, v26
	v_and_b32_e32 v26, 0xffff, v142
	;; [unrolled: 1-line block ×3, first 2 shown]
	v_lshlrev_b32_e32 v27, 4, v87
	ds_store_2addr_b64 v226, v[113:114], v[48:49] offset0:40 offset1:50
	ds_store_2addr_b64 v227, v[117:118], v[119:120] offset1:10
	ds_store_2addr_b64 v227, v[121:122], v[32:33] offset0:20 offset1:30
	v_mul_u32_u24_e32 v176, 0x8889, v26
	v_and_b32_e32 v26, 0xffff, v145
	v_lshlrev_b32_e32 v28, 4, v88
	ds_store_2addr_b64 v227, v[34:35], v[123:124] offset0:40 offset1:50
	s_waitcnt lgkmcnt(0)
	v_lshrrev_b32_e32 v92, 21, v176
	v_mul_u32_u24_e32 v177, 0x8889, v26
	v_and_b32_e32 v26, 0xffff, v240
	s_barrier
	buffer_gl0_inv
	s_clause 0x2
	global_load_b128 v[103:106], v29, s[4:5] offset:800
	global_load_b128 v[107:110], v27, s[4:5] offset:800
	;; [unrolled: 1-line block ×3, first 2 shown]
	v_mul_lo_u16 v28, v92, 60
	v_and_b32_e32 v27, 0xffff, v140
	v_lshrrev_b32_e32 v98, 21, v177
	v_mul_u32_u24_e32 v174, 0x8889, v26
	v_lshrrev_b32_e32 v99, 21, v172
	v_sub_nc_u16 v26, v142, v28
	v_mul_u32_u24_e32 v163, 0x8889, v27
	v_mul_lo_u16 v27, v98, 60
	v_lshrrev_b32_e32 v100, 21, v174
	v_mul_lo_u16 v28, v99, 60
	v_and_b32_e32 v93, 0xffff, v26
	v_lshlrev_b32_e32 v29, 4, v89
	v_sub_nc_u16 v26, v145, v27
	v_mul_lo_u16 v27, v100, 60
	v_sub_nc_u16 v28, v130, v28
	v_lshlrev_b32_e32 v31, 4, v93
	v_and_b32_e32 v46, 0xffff, v245
	v_and_b32_e32 v94, 0xffff, v26
	v_sub_nc_u16 v32, v240, v27
	v_and_b32_e32 v95, 0xffff, v28
	s_clause 0x1
	global_load_b128 v[115:118], v29, s[4:5] offset:800
	global_load_b128 v[26:29], v31, s[4:5] offset:800
	v_lshrrev_b32_e32 v101, 21, v163
	v_and_b32_e32 v48, 0xffff, v241
	v_mul_u32_u24_e32 v173, 0x8889, v46
	v_and_b32_e32 v119, 0xffff, v242
	v_and_b32_e32 v120, 0xffff, v249
	v_mul_lo_u16 v30, v101, 60
	v_mul_u32_u24_e32 v141, 0x8889, v48
	v_lshrrev_b32_e32 v102, 21, v173
	v_mul_u32_u24_e32 v171, 0x8889, v119
	v_and_b32_e32 v119, 0xffff, v253
	v_sub_nc_u16 v30, v140, v30
	v_lshrrev_b32_e32 v125, 21, v141
	v_mul_u32_u24_e32 v175, 0x8889, v120
	v_mul_lo_u16 v120, v102, 60
	v_lshrrev_b32_e32 v138, 21, v171
	v_mul_u32_u24_e32 v164, 0x8889, v119
	v_lshlrev_b32_e32 v31, 4, v94
	v_and_b32_e32 v96, 0xffff, v32
	v_lshlrev_b32_e32 v32, 4, v95
	v_and_b32_e32 v97, 0xffff, v30
	v_mul_lo_u16 v119, v125, 60
	v_lshrrev_b32_e32 v227, 21, v175
	v_sub_nc_u16 v120, v245, v120
	v_mul_lo_u16 v121, v138, 60
	v_lshrrev_b32_e32 v228, 21, v164
	s_clause 0x1
	global_load_b128 v[34:37], v31, s[4:5] offset:800
	global_load_b128 v[30:33], v32, s[4:5] offset:800
	v_lshlrev_b32_e32 v47, 4, v96
	v_lshlrev_b32_e32 v50, 4, v97
	v_sub_nc_u16 v119, v241, v119
	v_mul_lo_u16 v122, v227, 60
	v_and_b32_e32 v229, 0xffff, v120
	v_sub_nc_u16 v120, v242, v121
	v_mul_lo_u16 v121, v228, 60
	s_clause 0x1
	global_load_b128 v[46:49], v47, s[4:5] offset:800
	global_load_b128 v[50:53], v50, s[4:5] offset:800
	v_and_b32_e32 v230, 0xffff, v119
	v_sub_nc_u16 v119, v249, v122
	v_and_b32_e32 v231, 0xffff, v120
	v_mul_lo_u16 v124, 0x89, v0
	v_sub_nc_u16 v120, v253, v121
	v_lshlrev_b32_e32 v122, 4, v229
	v_and_b32_e32 v232, 0xffff, v119
	v_lshlrev_b32_e32 v131, 4, v231
	v_lshrrev_b16 v180, 13, v124
	v_lshlrev_b32_e32 v123, 4, v230
	v_and_b32_e32 v233, 0xffff, v120
	s_clause 0x1
	global_load_b128 v[119:122], v122, s[4:5] offset:800
	global_load_b128 v[151:154], v123, s[4:5] offset:800
	v_lshlrev_b32_e32 v123, 4, v232
	global_load_b128 v[155:158], v131, s[4:5] offset:800
	v_mul_lo_u16 v131, v180, 60
	v_lshlrev_b32_e32 v124, 4, v233
	s_clause 0x1
	global_load_b128 v[159:162], v123, s[4:5] offset:800
	global_load_b128 v[181:184], v124, s[4:5] offset:800
	v_sub_nc_u16 v123, v0, v131
	v_and_b32_e32 v235, 0xffff, v180
	v_lshrrev_b16 v180, 14, v83
	v_mul_u32_u24_e32 v237, 0x3c0, v90
	v_mul_u32_u24_e32 v238, 0x3c0, v91
	v_and_b32_e32 v234, 0xff, v123
	v_mul_u32_u24_e32 v235, 0x3c0, v235
	v_mul_u32_u24_e32 v239, 0x3c0, v92
	;; [unrolled: 1-line block ×3, first 2 shown]
	v_lshlrev_b32_e32 v85, 3, v85
	v_lshlrev_b32_e32 v123, 4, v234
	;; [unrolled: 1-line block ×4, first 2 shown]
	v_mul_u32_u24_e32 v125, 0x3c0, v125
	v_mul_u32_u24_e32 v138, 0x3c0, v138
	global_load_b128 v[185:188], v123, s[4:5] offset:800
	ds_load_2addr_stride64_b64 v[191:194], v214 offset0:32 offset1:34
	ds_load_2addr_stride64_b64 v[195:198], v214 offset0:36 offset1:38
	;; [unrolled: 1-line block ×6, first 2 shown]
	s_waitcnt vmcnt(13) lgkmcnt(5)
	v_mul_f64 v[131:132], v[193:194], v[109:110]
	v_mul_f64 v[123:124], v[191:192], v[105:106]
	;; [unrolled: 1-line block ×4, first 2 shown]
	s_waitcnt vmcnt(12) lgkmcnt(4)
	v_mul_f64 v[134:135], v[195:196], v[113:114]
	v_mul_f64 v[113:114], v[38:39], v[113:114]
	s_waitcnt vmcnt(11)
	v_mul_f64 v[136:137], v[197:198], v[117:118]
	v_mul_f64 v[117:118], v[40:41], v[117:118]
	v_fma_f64 v[44:45], v[44:45], v[107:108], v[131:132]
	v_fma_f64 v[42:43], v[42:43], v[103:104], v[123:124]
	v_fma_f64 v[123:124], v[191:192], v[103:104], -v[105:106]
	s_waitcnt vmcnt(10) lgkmcnt(3)
	v_mul_f64 v[131:132], v[199:200], v[28:29]
	ds_load_2addr_stride64_b64 v[103:106], v214 offset0:56 offset1:58
	v_fma_f64 v[107:108], v[193:194], v[107:108], -v[109:110]
	v_fma_f64 v[134:135], v[38:39], v[111:112], v[134:135]
	v_fma_f64 v[111:112], v[195:196], v[111:112], -v[113:114]
	v_mul_f64 v[28:29], v[18:19], v[28:29]
	s_waitcnt vmcnt(9)
	v_mul_f64 v[191:192], v[201:202], v[36:37]
	s_waitcnt vmcnt(8) lgkmcnt(3)
	v_mul_f64 v[109:110], v[203:204], v[32:33]
	v_mul_f64 v[32:33], v[14:15], v[32:33]
	s_waitcnt vmcnt(7)
	v_mul_f64 v[193:194], v[205:206], v[48:49]
	s_waitcnt vmcnt(6) lgkmcnt(2)
	v_mul_f64 v[223:224], v[207:208], v[52:53]
	v_fma_f64 v[136:137], v[40:41], v[115:116], v[136:137]
	ds_load_2addr_stride64_b64 v[38:41], v214 offset1:30
	v_fma_f64 v[115:116], v[197:198], v[115:116], -v[117:118]
	s_waitcnt vmcnt(5)
	v_mul_f64 v[225:226], v[209:210], v[121:122]
	s_waitcnt vmcnt(4) lgkmcnt(2)
	v_mul_f64 v[113:114], v[219:220], v[153:154]
	s_waitcnt vmcnt(3)
	v_mul_f64 v[195:196], v[221:222], v[157:158]
	v_add_f64 v[44:45], v[66:67], -v[44:45]
	s_waitcnt vmcnt(2) lgkmcnt(1)
	v_mul_f64 v[117:118], v[103:104], v[161:162]
	s_waitcnt vmcnt(1)
	v_mul_f64 v[197:198], v[105:106], v[183:184]
	v_fma_f64 v[18:19], v[18:19], v[26:27], v[131:132]
	v_add_f64 v[42:43], v[64:65], -v[42:43]
	v_fma_f64 v[26:27], v[199:200], v[26:27], -v[28:29]
	v_fma_f64 v[90:91], v[20:21], v[34:35], v[191:192]
	v_mul_f64 v[20:21], v[20:21], v[36:37]
	v_fma_f64 v[14:15], v[14:15], v[30:31], v[109:110]
	v_mul_f64 v[109:110], v[6:7], v[153:154]
	v_fma_f64 v[30:31], v[203:204], v[30:31], -v[32:33]
	v_mul_u32_u24_e32 v153, 0x3c0, v98
	v_mul_u32_u24_e32 v154, 0x3c0, v99
	v_lshlrev_b32_e32 v191, 3, v97
	v_fma_f64 v[36:37], v[16:17], v[46:47], v[193:194]
	s_waitcnt vmcnt(0) lgkmcnt(0)
	v_mul_f64 v[83:84], v[40:41], v[187:188]
	v_mul_f64 v[131:132], v[4:5], v[187:188]
	;; [unrolled: 1-line block ×4, first 2 shown]
	v_fma_f64 v[10:11], v[10:11], v[50:51], v[223:224]
	v_add3_u32 v224, 0, v235, v92
	v_mul_u32_u24_e32 v92, 0x3c0, v236
	v_mul_u32_u24_e32 v223, 0x3c0, v228
	v_lshlrev_b32_e32 v228, 3, v231
	v_lshlrev_b32_e32 v187, 3, v95
	;; [unrolled: 1-line block ×3, first 2 shown]
	v_add3_u32 v231, 0, v92, v85
	v_fma_f64 v[52:53], v[12:13], v[119:120], v[225:226]
	v_mul_f64 v[12:13], v[12:13], v[121:122]
	v_fma_f64 v[6:7], v[6:7], v[151:152], v[113:114]
	v_fma_f64 v[113:114], v[8:9], v[155:156], v[195:196]
	v_mul_f64 v[8:9], v[8:9], v[157:158]
	v_mul_f64 v[121:122], v[22:23], v[161:162]
	v_mul_u32_u24_e32 v162, 0x3c0, v227
	v_lshlrev_b32_e32 v226, 3, v229
	v_fma_f64 v[22:23], v[22:23], v[159:160], v[117:118]
	v_fma_f64 v[117:118], v[24:25], v[181:182], v[197:198]
	v_mul_f64 v[24:25], v[24:25], v[183:184]
	v_lshlrev_b32_e32 v227, 3, v230
	v_lshlrev_b32_e32 v229, 3, v232
	;; [unrolled: 1-line block ×3, first 2 shown]
	v_add3_u32 v232, 0, v86, v87
	v_mul_u32_u24_e32 v157, 0x3c0, v100
	v_mul_u32_u24_e32 v158, 0x3c0, v101
	v_fma_f64 v[20:21], v[201:202], v[34:35], -v[20:21]
	v_lshlrev_b32_e32 v183, 3, v93
	v_lshlrev_b32_e32 v184, 3, v94
	v_mul_u32_u24_e32 v161, 0x3c0, v102
	v_add_f64 v[18:19], v[54:55], -v[18:19]
	v_add_f64 v[14:15], v[58:59], -v[14:15]
	v_add3_u32 v199, 0, v239, v183
	v_add_f64 v[36:37], v[60:61], -v[36:37]
	v_fma_f64 v[4:5], v[4:5], v[185:186], v[83:84]
	v_fma_f64 v[34:35], v[40:41], v[185:186], -v[131:132]
	v_fma_f64 v[16:17], v[205:206], v[46:47], -v[16:17]
	;; [unrolled: 1-line block ×3, first 2 shown]
	v_lshlrev_b32_e32 v83, 3, v88
	v_lshlrev_b32_e32 v84, 3, v89
	v_fma_f64 v[46:47], v[219:220], v[151:152], -v[109:110]
	v_add_f64 v[89:90], v[56:57], -v[90:91]
	v_add_f64 v[50:51], v[72:73], -v[134:135]
	v_add3_u32 v233, 0, v237, v83
	v_add3_u32 v234, 0, v238, v84
	ds_load_b64 v[83:84], v133
	ds_load_b64 v[85:86], v139
	ds_load_b64 v[28:29], v215
	ds_load_b64 v[40:41], v189
	ds_load_b64 v[87:88], v190
	ds_load_b64 v[92:93], v165
	ds_load_b64 v[94:95], v166
	ds_load_b64 v[96:97], v218
	ds_load_b64 v[98:99], v217
	ds_load_b64 v[100:101], v216
	v_fma_f64 v[12:13], v[209:210], v[119:120], -v[12:13]
	v_add_f64 v[52:53], v[68:69], -v[52:53]
	v_add_f64 v[6:7], v[74:75], -v[6:7]
	v_fma_f64 v[8:9], v[221:222], v[155:156], -v[8:9]
	v_fma_f64 v[48:49], v[103:104], v[159:160], -v[121:122]
	v_add_f64 v[102:103], v[70:71], -v[136:137]
	v_add_f64 v[10:11], v[62:63], -v[10:11]
	;; [unrolled: 1-line block ×4, first 2 shown]
	v_fma_f64 v[24:25], v[105:106], v[181:182], -v[24:25]
	v_add_f64 v[104:105], v[76:77], -v[113:114]
	ds_load_b64 v[113:114], v167
	ds_load_b64 v[117:118], v168
	;; [unrolled: 1-line block ×4, first 2 shown]
	v_add3_u32 v200, 0, v153, v184
	v_add3_u32 v201, 0, v154, v187
	s_waitcnt lgkmcnt(9)
	v_add_f64 v[185:186], v[87:88], -v[30:31]
	v_add3_u32 v202, 0, v157, v188
	v_add_f64 v[131:132], v[83:84], -v[123:124]
	v_add_f64 v[106:107], v[85:86], -v[107:108]
	s_waitcnt lgkmcnt(5)
	v_add_f64 v[134:135], v[98:99], -v[111:112]
	v_add_f64 v[136:137], v[96:97], -v[115:116]
	;; [unrolled: 1-line block ×4, first 2 shown]
	v_add3_u32 v203, 0, v158, v191
	v_fma_f64 v[30:31], v[58:59], 2.0, -v[14:15]
	v_add_f64 v[4:5], v[2:3], -v[4:5]
	v_add_f64 v[34:35], v[38:39], -v[34:35]
	;; [unrolled: 1-line block ×4, first 2 shown]
	v_fma_f64 v[32:33], v[60:61], 2.0, -v[36:37]
	v_mul_lo_u16 v225, 0x78, v180
	s_waitcnt lgkmcnt(3)
	v_add_f64 v[46:47], v[113:114], -v[46:47]
	v_fma_f64 v[26:27], v[56:57], 2.0, -v[89:90]
	v_fma_f64 v[16:17], v[72:73], 2.0, -v[50:51]
	v_add3_u32 v108, 0, v161, v226
	v_add3_u32 v204, 0, v125, v227
	;; [unrolled: 1-line block ×5, first 2 shown]
	v_add_f64 v[193:194], v[100:101], -v[12:13]
	v_fma_f64 v[12:13], v[66:67], 2.0, -v[44:45]
	v_fma_f64 v[56:57], v[68:69], 2.0, -v[52:53]
	s_waitcnt lgkmcnt(2)
	v_add_f64 v[195:196], v[117:118], -v[8:9]
	s_waitcnt lgkmcnt(1)
	v_add_f64 v[48:49], v[119:120], -v[48:49]
	v_fma_f64 v[8:9], v[64:65], 2.0, -v[42:43]
	v_fma_f64 v[20:21], v[70:71], 2.0, -v[102:103]
	;; [unrolled: 1-line block ×4, first 2 shown]
	s_waitcnt lgkmcnt(0)
	v_add_f64 v[197:198], v[121:122], -v[24:25]
	v_fma_f64 v[24:25], v[54:55], 2.0, -v[18:19]
	v_fma_f64 v[60:61], v[76:77], 2.0, -v[104:105]
	;; [unrolled: 1-line block ×11, first 2 shown]
	s_barrier
	buffer_gl0_inv
	v_fma_f64 v[2:3], v[2:3], 2.0, -v[4:5]
	v_fma_f64 v[38:39], v[38:39], 2.0, -v[34:35]
	v_fma_f64 v[78:79], v[92:93], 2.0, -v[187:188]
	v_fma_f64 v[80:81], v[94:95], 2.0, -v[191:192]
	ds_store_2addr_b64 v224, v[2:3], v[4:5] offset1:60
	ds_store_2addr_b64 v231, v[8:9], v[42:43] offset1:60
	;; [unrolled: 1-line block ×15, first 2 shown]
	v_fma_f64 v[83:84], v[100:101], 2.0, -v[193:194]
	v_fma_f64 v[85:86], v[113:114], 2.0, -v[46:47]
	;; [unrolled: 1-line block ×5, first 2 shown]
	s_waitcnt lgkmcnt(0)
	s_barrier
	buffer_gl0_inv
	ds_load_b64 v[120:121], v133
	ds_load_b64 v[122:123], v139
	;; [unrolled: 1-line block ×14, first 2 shown]
	ds_load_2addr_stride64_b64 v[2:5], v214 offset1:30
	ds_load_2addr_stride64_b64 v[30:33], v214 offset0:32 offset1:34
	ds_load_2addr_stride64_b64 v[26:29], v214 offset0:36 offset1:38
	ds_load_2addr_stride64_b64 v[22:25], v214 offset0:40 offset1:42
	ds_load_2addr_stride64_b64 v[18:21], v214 offset0:44 offset1:46
	ds_load_2addr_stride64_b64 v[14:17], v214 offset0:48 offset1:50
	ds_load_2addr_stride64_b64 v[10:13], v214 offset0:52 offset1:54
	ds_load_2addr_stride64_b64 v[6:9], v214 offset0:56 offset1:58
	s_waitcnt lgkmcnt(0)
	s_barrier
	buffer_gl0_inv
	ds_store_2addr_b64 v224, v[38:39], v[34:35] offset1:60
	ds_store_2addr_b64 v231, v[66:67], v[131:132] offset1:60
	;; [unrolled: 1-line block ×7, first 2 shown]
	v_lshrrev_b32_e32 v183, 22, v82
	v_sub_nc_u16 v34, v251, v225
	ds_store_2addr_b64 v201, v[76:77], v[185:186] offset1:60
	ds_store_2addr_b64 v202, v[78:79], v[187:188] offset1:60
	;; [unrolled: 1-line block ×3, first 2 shown]
	v_lshrrev_b32_e32 v185, 22, v178
	v_lshrrev_b32_e32 v182, 22, v179
	v_mul_lo_u16 v35, 0x78, v183
	v_and_b32_e32 v181, 0xff, v34
	v_lshrrev_b32_e32 v184, 22, v176
	v_lshrrev_b32_e32 v187, 22, v177
	;; [unrolled: 1-line block ×3, first 2 shown]
	v_sub_nc_u16 v34, v247, v35
	v_mul_lo_u16 v35, 0x78, v185
	v_lshlrev_b32_e32 v36, 4, v181
	v_mul_lo_u16 v37, 0x78, v187
	v_mul_lo_u16 v38, 0x78, v192
	v_and_b32_e32 v186, 0xffff, v34
	v_sub_nc_u16 v34, v128, v35
	v_mul_lo_u16 v35, 0x78, v182
	v_lshrrev_b32_e32 v201, 22, v171
	v_lshrrev_b32_e32 v200, 22, v141
	;; [unrolled: 1-line block ×3, first 2 shown]
	v_and_b32_e32 v188, 0xffff, v34
	v_lshlrev_b32_e32 v34, 4, v186
	v_sub_nc_u16 v35, v149, v35
	v_lshrrev_b32_e32 v203, 22, v164
	ds_store_2addr_b64 v108, v[83:84], v[193:194] offset1:60
	ds_store_2addr_b64 v204, v[85:86], v[46:47] offset1:60
	;; [unrolled: 1-line block ×5, first 2 shown]
	s_waitcnt lgkmcnt(0)
	s_barrier
	buffer_gl0_inv
	global_load_b128 v[46:49], v36, s[4:5] offset:1760
	v_lshlrev_b32_e32 v36, 4, v188
	s_clause 0x1
	global_load_b128 v[82:85], v34, s[4:5] offset:1760
	global_load_b128 v[78:81], v36, s[4:5] offset:1760
	v_and_b32_e32 v191, 0xffff, v35
	v_mul_lo_u16 v35, 0x78, v184
	v_lshrrev_b32_e32 v196, 22, v174
	v_lshrrev_b32_e32 v198, 22, v163
	;; [unrolled: 1-line block ×3, first 2 shown]
	v_mul_lo_u16 v59, 0x78, v201
	v_sub_nc_u16 v34, v142, v35
	v_sub_nc_u16 v35, v145, v37
	;; [unrolled: 1-line block ×3, first 2 shown]
	v_lshlrev_b32_e32 v38, 4, v191
	v_mul_lo_u16 v36, 0x78, v196
	v_and_b32_e32 v193, 0xffff, v34
	v_and_b32_e32 v194, 0xffff, v35
	v_mul_lo_u16 v50, 0x78, v198
	v_and_b32_e32 v195, 0xffff, v37
	v_sub_nc_u16 v34, v240, v36
	v_lshlrev_b32_e32 v35, 4, v193
	s_clause 0x1
	global_load_b128 v[98:101], v38, s[4:5] offset:1760
	global_load_b128 v[42:45], v35, s[4:5] offset:1760
	v_sub_nc_u16 v50, v140, v50
	v_and_b32_e32 v197, 0xffff, v34
	v_lshlrev_b32_e32 v36, 4, v194
	v_mul_lo_u16 v58, 0x78, v200
	v_mul_lo_u16 v60, 0x78, v202
	v_and_b32_e32 v199, 0xffff, v50
	v_mul_lo_u16 v50, 0x78, v204
	v_lshlrev_b32_e32 v51, 4, v197
	v_lshlrev_b32_e32 v34, 4, v195
	v_mul_lo_u16 v62, 0x78, v203
	v_lshlrev_b32_e32 v54, 4, v199
	v_sub_nc_u16 v61, v245, v50
	v_sub_nc_u16 v59, v242, v59
	s_clause 0x3
	global_load_b128 v[38:41], v36, s[4:5] offset:1760
	global_load_b128 v[34:37], v34, s[4:5] offset:1760
	;; [unrolled: 1-line block ×4, first 2 shown]
	v_sub_nc_u16 v58, v241, v58
	v_sub_nc_u16 v60, v249, v60
	;; [unrolled: 1-line block ×3, first 2 shown]
	v_and_b32_e32 v205, 0xffff, v61
	v_and_b32_e32 v207, 0xffff, v59
	;; [unrolled: 1-line block ×5, first 2 shown]
	v_add_nc_u32_e32 v66, 0xffffff88, v0
	v_lshlrev_b32_e32 v58, 4, v205
	v_lshlrev_b32_e32 v67, 4, v207
	;; [unrolled: 1-line block ×5, first 2 shown]
	s_clause 0x1
	global_load_b128 v[58:61], v58, s[4:5] offset:1760
	global_load_b128 v[62:65], v62, s[4:5] offset:1760
	v_cndmask_b32_e64 v108, v66, v0, s0
	s_clause 0x2
	global_load_b128 v[74:77], v67, s[4:5] offset:1760
	global_load_b128 v[66:69], v68, s[4:5] offset:1760
	;; [unrolled: 1-line block ×3, first 2 shown]
	v_dual_mov_b32 v109, 0 :: v_dual_add_nc_u32 v138, 0xffffff90, v0
	v_mul_u32_u24_e32 v183, 0x780, v183
	v_lshlrev_b32_e32 v210, 3, v108
	v_mul_u32_u24_e32 v185, 0x780, v185
	s_delay_alu instid0(VALU_DEP_4) | instskip(SKIP_2) | instid1(VALU_DEP_3)
	v_lshlrev_b64 v[86:87], 4, v[108:109]
	v_lshrrev_b32_e32 v178, 23, v178
	v_lshrrev_b32_e32 v179, 23, v179
	v_add_co_u32 v86, s0, s4, v86
	s_delay_alu instid0(VALU_DEP_1)
	v_add_co_ci_u32_e64 v87, s0, s5, v87, s0
	v_cmp_gt_u32_e64 s0, 0xf0, v251
	global_load_b128 v[86:89], v[86:87], off offset:1760
	ds_load_2addr_stride64_b64 v[219:222], v214 offset0:32 offset1:34
	ds_load_2addr_stride64_b64 v[223:226], v214 offset0:36 offset1:38
	v_cndmask_b32_e64 v108, v138, v251, s0
	v_cmp_lt_u32_e64 s0, 0x77, v0
	v_and_b32_e32 v138, 0xffff, v180
	s_delay_alu instid0(VALU_DEP_2) | instskip(NEXT) | instid1(VALU_DEP_2)
	v_cndmask_b32_e64 v239, 0, 0x780, s0
	v_mul_u32_u24_e32 v138, 0x780, v138
	s_waitcnt vmcnt(14) lgkmcnt(1)
	v_mul_f64 v[131:132], v[219:220], v[48:49]
	v_mul_f64 v[48:49], v[30:31], v[48:49]
	s_waitcnt vmcnt(13)
	v_mul_f64 v[134:135], v[221:222], v[84:85]
	s_waitcnt vmcnt(12) lgkmcnt(0)
	v_mul_f64 v[136:137], v[223:224], v[80:81]
	v_mul_f64 v[80:81], v[26:27], v[80:81]
	;; [unrolled: 1-line block ×3, first 2 shown]
	s_waitcnt vmcnt(11)
	v_mul_f64 v[227:228], v[225:226], v[100:101]
	v_mul_f64 v[229:230], v[28:29], v[100:101]
	ds_load_2addr_stride64_b64 v[104:107], v214 offset0:40 offset1:42
	ds_load_2addr_stride64_b64 v[90:93], v214 offset0:44 offset1:46
	;; [unrolled: 1-line block ×4, first 2 shown]
	v_fma_f64 v[131:132], v[30:31], v[46:47], v[131:132]
	v_fma_f64 v[219:220], v[219:220], v[46:47], -v[48:49]
	ds_load_2addr_stride64_b64 v[46:49], v214 offset0:56 offset1:58
	v_fma_f64 v[134:135], v[32:33], v[82:83], v[134:135]
	v_fma_f64 v[26:27], v[26:27], v[78:79], v[136:137]
	v_fma_f64 v[78:79], v[223:224], v[78:79], -v[80:81]
	v_fma_f64 v[82:83], v[221:222], v[82:83], -v[84:85]
	s_waitcnt vmcnt(6) lgkmcnt(2)
	v_mul_f64 v[80:81], v[94:95], v[56:57]
	v_mul_f64 v[84:85], v[90:91], v[36:37]
	ds_load_2addr_stride64_b64 v[30:33], v214 offset1:30
	v_mul_f64 v[56:57], v[14:15], v[56:57]
	v_mul_f64 v[231:232], v[104:105], v[44:45]
	;; [unrolled: 1-line block ×8, first 2 shown]
	s_waitcnt vmcnt(5)
	v_mul_f64 v[136:137], v[96:97], v[60:61]
	v_mul_f64 v[60:61], v[16:17], v[60:61]
	s_waitcnt vmcnt(4) lgkmcnt(2)
	v_mul_f64 v[223:224], v[100:101], v[64:65]
	s_waitcnt vmcnt(1) lgkmcnt(1)
	v_mul_f64 v[235:236], v[48:49], v[72:73]
	v_mul_f64 v[64:65], v[10:11], v[64:65]
	v_fma_f64 v[28:29], v[28:29], v[98:99], v[227:228]
	v_fma_f64 v[225:226], v[225:226], v[98:99], -v[229:230]
	v_lshlrev_b64 v[98:99], 4, v[108:109]
	v_mul_f64 v[227:228], v[102:103], v[76:77]
	v_mul_f64 v[76:77], v[12:13], v[76:77]
	;; [unrolled: 1-line block ×4, first 2 shown]
	v_add_co_u32 v237, s0, s4, v98
	v_lshlrev_b32_e32 v98, 3, v181
	v_add_co_ci_u32_e64 v238, s0, s5, v99, s0
	v_lshlrev_b32_e32 v99, 3, v186
	v_lshlrev_b32_e32 v186, 3, v188
	s_waitcnt vmcnt(0) lgkmcnt(0)
	v_mul_f64 v[180:181], v[32:33], v[88:89]
	v_add3_u32 v138, 0, v138, v98
	v_add3_u32 v188, 0, v239, v210
	;; [unrolled: 1-line block ×3, first 2 shown]
	v_lshlrev_b64 v[98:99], 4, v[0:1]
	v_mul_u32_u24_e32 v1, 0x780, v182
	v_fma_f64 v[14:15], v[14:15], v[54:55], v[80:81]
	v_mul_f64 v[80:81], v[4:5], v[88:89]
	v_fma_f64 v[18:19], v[18:19], v[34:35], v[84:85]
	v_add_f64 v[26:27], v[161:162], -v[26:27]
	v_fma_f64 v[22:23], v[22:23], v[42:43], v[231:232]
	v_fma_f64 v[42:43], v[104:105], v[42:43], -v[44:45]
	v_fma_f64 v[24:25], v[24:25], v[38:39], v[233:234]
	v_fma_f64 v[38:39], v[106:107], v[38:39], -v[40:41]
	v_fma_f64 v[34:35], v[90:91], v[34:35], -v[36:37]
	v_fma_f64 v[20:21], v[20:21], v[50:51], v[221:222]
	v_fma_f64 v[50:51], v[92:93], v[50:51], -v[52:53]
	;; [unrolled: 3-line block ×3, first 2 shown]
	v_fma_f64 v[84:85], v[8:9], v[70:71], v[235:236]
	v_mul_f64 v[8:9], v[8:9], v[72:73]
	v_fma_f64 v[10:11], v[10:11], v[62:63], v[223:224]
	v_fma_f64 v[56:57], v[100:101], v[62:63], -v[64:65]
	v_lshlrev_b32_e32 v72, 3, v191
	v_mul_u32_u24_e32 v136, 0x780, v184
	v_fma_f64 v[12:13], v[12:13], v[74:75], v[227:228]
	v_fma_f64 v[58:59], v[102:103], v[74:75], -v[76:77]
	v_fma_f64 v[6:7], v[6:7], v[66:67], v[229:230]
	v_fma_f64 v[46:47], v[46:47], v[66:67], -v[68:69]
	v_mul_u32_u24_e32 v184, 0x780, v196
	v_add3_u32 v196, 0, v1, v72
	ds_load_b64 v[44:45], v133
	ds_load_b64 v[72:73], v139
	;; [unrolled: 1-line block ×3, first 2 shown]
	v_add_f64 v[60:61], v[122:123], -v[134:135]
	v_add_f64 v[28:29], v[159:160], -v[28:29]
	v_lshlrev_b32_e32 v1, 3, v193
	v_mul_u32_u24_e32 v137, 0x780, v187
	v_fma_f64 v[4:5], v[4:5], v[86:87], v[180:181]
	v_mul_u32_u24_e32 v187, 0x780, v204
	v_lshlrev_b32_e32 v193, 3, v194
	v_add3_u32 v204, 0, v136, v1
	v_mul_u32_u24_e32 v191, 0x780, v202
	v_lshlrev_b32_e32 v202, 3, v208
	v_add_f64 v[14:15], v[118:119], -v[14:15]
	v_fma_f64 v[32:33], v[32:33], v[86:87], -v[80:81]
	ds_load_b64 v[80:81], v189
	ds_load_b64 v[86:87], v190
	;; [unrolled: 1-line block ×7, first 2 shown]
	v_add_f64 v[22:23], v[110:111], -v[22:23]
	v_add_f64 v[18:19], v[114:115], -v[18:19]
	;; [unrolled: 1-line block ×3, first 2 shown]
	s_waitcnt lgkmcnt(9)
	v_add_f64 v[76:77], v[44:45], -v[219:220]
	s_waitcnt lgkmcnt(8)
	v_add_f64 v[82:83], v[72:73], -v[82:83]
	;; [unrolled: 2-line block ×3, first 2 shown]
	v_add_f64 v[20:21], v[116:117], -v[20:21]
	v_fma_f64 v[96:97], v[161:162], 2.0, -v[26:27]
	v_add_f64 v[16:17], v[124:125], -v[16:17]
	v_add3_u32 v193, 0, v137, v193
	v_add_f64 v[62:63], v[157:158], -v[84:85]
	v_fma_f64 v[8:9], v[48:49], v[70:71], -v[8:9]
	ds_load_b64 v[64:65], v167
	ds_load_b64 v[66:67], v168
	;; [unrolled: 1-line block ×4, first 2 shown]
	v_add_f64 v[48:49], v[120:121], -v[131:132]
	v_add_f64 v[10:11], v[151:152], -v[10:11]
	s_waitcnt lgkmcnt(10)
	v_add_f64 v[38:39], v[80:81], -v[38:39]
	v_add_f64 v[12:13], v[153:154], -v[12:13]
	s_waitcnt lgkmcnt(6)
	v_add_f64 v[84:85], v[36:37], -v[225:226]
	s_waitcnt lgkmcnt(5)
	v_add_f64 v[78:79], v[90:91], -v[78:79]
	v_add_f64 v[50:51], v[88:89], -v[50:51]
	;; [unrolled: 1-line block ×3, first 2 shown]
	s_waitcnt lgkmcnt(4)
	v_add_f64 v[54:55], v[106:107], -v[54:55]
	v_add_f64 v[6:7], v[155:156], -v[6:7]
	v_add3_u32 v185, 0, v185, v186
	v_fma_f64 v[94:95], v[122:123], 2.0, -v[60:61]
	v_fma_f64 v[100:101], v[159:160], 2.0, -v[28:29]
	v_mul_u32_u24_e32 v182, 0x780, v192
	v_mul_u32_u24_e32 v186, 0x780, v198
	v_add_f64 v[4:5], v[2:3], -v[4:5]
	s_waitcnt lgkmcnt(3)
	v_add_f64 v[56:57], v[64:65], -v[56:57]
	s_waitcnt lgkmcnt(2)
	;; [unrolled: 2-line block ×3, first 2 shown]
	v_add_f64 v[46:47], v[68:69], -v[46:47]
	v_mul_u32_u24_e32 v180, 0x780, v200
	v_mul_u32_u24_e32 v181, 0x780, v201
	;; [unrolled: 1-line block ×3, first 2 shown]
	v_add_f64 v[74:75], v[30:31], -v[32:33]
	v_add_f64 v[33:34], v[86:87], -v[34:35]
	v_mul_lo_u16 v198, 0xf0, v178
	v_fma_f64 v[102:103], v[110:111], 2.0, -v[22:23]
	v_lshlrev_b32_e32 v194, 3, v195
	v_fma_f64 v[110:111], v[112:113], 2.0, -v[24:25]
	v_fma_f64 v[44:45], v[44:45], 2.0, -v[76:77]
	;; [unrolled: 1-line block ×9, first 2 shown]
	s_waitcnt lgkmcnt(0)
	v_add_f64 v[92:93], v[70:71], -v[8:9]
	v_lshlrev_b32_e32 v195, 3, v197
	v_fma_f64 v[8:9], v[120:121], 2.0, -v[48:49]
	v_fma_f64 v[120:121], v[151:152], 2.0, -v[10:11]
	;; [unrolled: 1-line block ×10, first 2 shown]
	v_lshlrev_b32_e32 v197, 3, v199
	v_lshlrev_b32_e32 v199, 3, v205
	;; [unrolled: 1-line block ×5, first 2 shown]
	v_fma_f64 v[1:2], v[2:3], 2.0, -v[4:5]
	v_fma_f64 v[64:65], v[64:65], 2.0, -v[56:57]
	;; [unrolled: 1-line block ×4, first 2 shown]
	v_add3_u32 v158, 0, v191, v202
	v_add3_u32 v182, 0, v182, v194
	;; [unrolled: 1-line block ×3, first 2 shown]
	v_fma_f64 v[134:135], v[30:31], 2.0, -v[74:75]
	v_fma_f64 v[86:87], v[86:87], 2.0, -v[33:34]
	v_add3_u32 v186, 0, v186, v197
	v_add3_u32 v155, 0, v187, v199
	;; [unrolled: 1-line block ×5, first 2 shown]
	s_barrier
	buffer_gl0_inv
	ds_store_2addr_b64 v188, v[1:2], v[4:5] offset1:120
	ds_store_2addr_b64 v138, v[8:9], v[48:49] offset1:120
	;; [unrolled: 1-line block ×15, first 2 shown]
	v_fma_f64 v[70:71], v[70:71], 2.0, -v[92:93]
	s_waitcnt lgkmcnt(0)
	s_barrier
	buffer_gl0_inv
	ds_load_b64 v[110:111], v133
	ds_load_b64 v[112:113], v139
	;; [unrolled: 1-line block ×14, first 2 shown]
	ds_load_2addr_stride64_b64 v[1:4], v214 offset1:30
	ds_load_2addr_stride64_b64 v[29:32], v214 offset0:32 offset1:34
	ds_load_2addr_stride64_b64 v[25:28], v214 offset0:36 offset1:38
	;; [unrolled: 1-line block ×7, first 2 shown]
	s_waitcnt lgkmcnt(0)
	s_barrier
	buffer_gl0_inv
	ds_store_2addr_b64 v188, v[134:135], v[74:75] offset1:120
	ds_store_2addr_b64 v138, v[44:45], v[76:77] offset1:120
	;; [unrolled: 1-line block ×15, first 2 shown]
	v_mul_lo_u16 v33, 0xf0, v179
	v_lshrrev_b32_e32 v158, 23, v176
	v_sub_nc_u16 v34, v128, v198
	v_add_co_u32 v93, s0, s4, v98
	s_delay_alu instid0(VALU_DEP_4) | instskip(NEXT) | instid1(VALU_DEP_4)
	v_sub_nc_u16 v33, v149, v33
	v_mul_lo_u16 v35, 0xf0, v158
	s_delay_alu instid0(VALU_DEP_4) | instskip(SKIP_4) | instid1(VALU_DEP_4)
	v_and_b32_e32 v176, 0xffff, v34
	v_lshrrev_b32_e32 v34, 23, v177
	v_add_co_ci_u32_e64 v94, s0, s5, v99, s0
	v_and_b32_e32 v177, 0xffff, v33
	v_sub_nc_u16 v33, v142, v35
	v_mul_lo_u16 v34, 0xf0, v34
	s_waitcnt lgkmcnt(0)
	s_barrier
	buffer_gl0_inv
	s_clause 0x1
	global_load_b128 v[37:40], v[237:238], off offset:3680
	global_load_b128 v[69:72], v[93:94], off offset:3936
	v_and_b32_e32 v179, 0xffff, v33
	v_sub_nc_u16 v33, v145, v34
	v_lshrrev_b32_e32 v159, 23, v172
	v_lshlrev_b32_e32 v35, 4, v176
	v_lshlrev_b32_e32 v36, 4, v177
	s_clause 0x1
	global_load_b128 v[81:84], v35, s[4:5] offset:3680
	global_load_b128 v[77:80], v36, s[4:5] offset:3680
	v_and_b32_e32 v180, 0xffff, v33
	v_lshrrev_b32_e32 v33, 23, v174
	v_mul_lo_u16 v41, 0xf0, v159
	v_lshlrev_b32_e32 v34, 4, v179
	v_lshrrev_b32_e32 v35, 23, v173
	v_lshrrev_b32_e32 v160, 23, v163
	v_mul_lo_u16 v33, 0xf0, v33
	v_sub_nc_u16 v41, v130, v41
	global_load_b128 v[89:92], v34, s[4:5] offset:3680
	v_mul_lo_u16 v35, 0xf0, v35
	v_mul_lo_u16 v42, 0xf0, v160
	v_sub_nc_u16 v33, v240, v33
	v_and_b32_e32 v182, 0xffff, v41
	v_lshrrev_b32_e32 v161, 23, v141
	v_lshrrev_b32_e32 v36, 23, v171
	v_sub_nc_u16 v42, v140, v42
	v_and_b32_e32 v183, 0xffff, v33
	v_lshlrev_b32_e32 v33, 4, v182
	v_lshrrev_b32_e32 v162, 23, v175
	v_mul_lo_u16 v43, 0xf0, v161
	v_and_b32_e32 v184, 0xffff, v42
	v_mul_lo_u16 v36, 0xf0, v36
	global_load_b128 v[85:88], v33, s[4:5] offset:3680
	v_lshlrev_b32_e32 v34, 4, v180
	v_mul_lo_u16 v44, 0xf0, v162
	v_sub_nc_u16 v42, v241, v43
	v_sub_nc_u16 v53, v242, v36
	v_add_nc_u32_e32 v97, 0x1200, v211
	global_load_b128 v[49:52], v34, s[4:5] offset:3680
	v_lshrrev_b32_e32 v34, 23, v164
	v_sub_nc_u16 v54, v249, v44
	v_and_b32_e32 v185, 0xffff, v42
	v_and_b32_e32 v186, 0xffff, v53
	v_cmp_lt_u32_e64 s0, 0xef, v251
	v_mul_lo_u16 v41, 0xf0, v34
	v_sub_nc_u16 v34, v245, v35
	v_lshlrev_b32_e32 v35, 4, v184
	v_and_b32_e32 v187, 0xffff, v54
	v_lshlrev_b32_e32 v53, 4, v185
	v_sub_nc_u16 v55, v253, v41
	v_and_b32_e32 v181, 0xffff, v34
	v_lshlrev_b32_e32 v34, 4, v183
	s_clause 0x1
	global_load_b128 v[45:48], v34, s[4:5] offset:3680
	global_load_b128 v[33:36], v35, s[4:5] offset:3680
	v_lshlrev_b32_e32 v43, 4, v181
	global_load_b128 v[73:76], v[93:94], off offset:3680
	v_and_b32_e32 v188, 0xffff, v55
	v_lshlrev_b32_e32 v57, 4, v186
	v_lshlrev_b32_e32 v61, 4, v187
	global_load_b128 v[41:44], v43, s[4:5] offset:3680
	v_lshlrev_b64 v[131:132], 4, v[251:252]
	v_lshlrev_b32_e32 v65, 4, v188
	s_clause 0x3
	global_load_b128 v[53:56], v53, s[4:5] offset:3680
	global_load_b128 v[57:60], v57, s[4:5] offset:3680
	global_load_b128 v[61:64], v61, s[4:5] offset:3680
	global_load_b128 v[65:68], v65, s[4:5] offset:3680
	ds_load_2addr_stride64_b64 v[192:195], v214 offset0:32 offset1:34
	v_lshrrev_b32_e32 v157, 24, v172
	v_lshrrev_b32_e32 v208, 24, v174
	;; [unrolled: 1-line block ×4, first 2 shown]
	ds_load_2addr_stride64_b64 v[171:174], v214 offset0:36 offset1:38
	v_lshlrev_b64 v[134:135], 4, v[247:248]
	v_cndmask_b32_e64 v138, 0, 0xf00, s0
	v_add_co_u32 v136, s0, s4, v97
	s_delay_alu instid0(VALU_DEP_1) | instskip(SKIP_1) | instid1(VALU_DEP_1)
	v_add_co_ci_u32_e64 v137, null, s5, 0, s0
	v_add_co_u32 v97, s0, s4, v131
	v_add_co_ci_u32_e64 v127, s0, s5, v132, s0
	v_add_co_u32 v126, s0, s4, v134
	s_delay_alu instid0(VALU_DEP_1)
	v_add_co_ci_u32_e64 v155, s0, s5, v135, s0
	v_lshrrev_b32_e32 v209, 24, v163
	v_lshrrev_b32_e32 v221, 24, v164
	ds_load_2addr_stride64_b64 v[196:199], v214 offset0:40 offset1:42
	v_mul_u32_u24_e32 v229, 0xf00, v158
	v_mul_u32_u24_e32 v230, 0xf00, v159
	;; [unrolled: 1-line block ×4, first 2 shown]
	v_mul_lo_u16 v224, 0x1e0, v219
	v_mul_lo_u16 v227, 0x1e0, v221
	v_lshlrev_b32_e32 v223, 3, v108
	v_add_co_u32 v153, s0, 0x1000, v136
	s_delay_alu instid0(VALU_DEP_4) | instskip(SKIP_1) | instid1(VALU_DEP_4)
	v_sub_nc_u16 v228, v242, v224
	v_add_co_ci_u32_e64 v154, s0, 0, v137, s0
	v_add3_u32 v138, 0, v138, v223
	v_add_co_u32 v131, s0, 0x1000, v97
	s_delay_alu instid0(VALU_DEP_1) | instskip(SKIP_1) | instid1(VALU_DEP_1)
	v_add_co_ci_u32_e64 v132, s0, 0, v127, s0
	v_add_co_u32 v136, s0, 0x1000, v126
	v_add_co_ci_u32_e64 v137, s0, 0, v155, s0
	v_lshl_add_u32 v156, v0, 3, 0
	v_add_nc_u32_e32 v0, 0xffffffa0, v0
	v_lshrrev_b32_e32 v175, 24, v175
	v_mul_u32_u24_e32 v178, 0xf00, v178
	v_lshrrev_b32_e32 v141, 24, v141
	v_mul_u32_u24_e32 v233, 0xf00, v162
	v_mul_lo_u16 v162, 0x1e0, v210
	v_mul_lo_u16 v175, 0x1e0, v175
	v_lshl_add_u32 v181, v181, 3, 0
	v_mul_lo_u16 v210, 0x1e0, v141
	v_add_nc_u32_e32 v191, 0xf80, v156
	v_sub_nc_u16 v162, v245, v162
	v_sub_nc_u16 v175, v249, v175
	v_lshlrev_b64 v[149:150], 4, v[149:150]
	v_sub_nc_u16 v210, v241, v210
	v_lshlrev_b64 v[144:145], 4, v[145:146]
	v_mul_u32_u24_e32 v141, 0x1e00, v141
	v_add_nc_u32_e32 v143, 0x100, v156
	s_waitcnt vmcnt(14) lgkmcnt(2)
	v_mul_f64 v[134:135], v[192:193], v[39:40]
	v_mul_f64 v[39:40], v[29:30], v[39:40]
	s_waitcnt vmcnt(13)
	v_mul_f64 v[163:164], v[194:195], v[71:72]
	v_mul_f64 v[200:201], v[31:32], v[71:72]
	v_add_co_u32 v71, s0, 0x1000, v93
	s_delay_alu instid0(VALU_DEP_1)
	v_add_co_ci_u32_e64 v72, s0, 0, v94, s0
	v_add_co_u32 v202, s0, 0x2000, v93
	s_waitcnt vmcnt(12) lgkmcnt(1)
	v_mul_f64 v[204:205], v[171:172], v[83:84]
	v_mul_f64 v[83:84], v[25:26], v[83:84]
	s_waitcnt vmcnt(11)
	v_mul_f64 v[158:159], v[173:174], v[79:80]
	v_mul_f64 v[160:161], v[27:28], v[79:80]
	v_mul_lo_u16 v79, 0x1e0, v208
	v_mul_lo_u16 v80, 0x1e0, v209
	v_add_co_ci_u32_e64 v203, s0, 0, v94, s0
	v_cmp_gt_u32_e64 s0, 0x1e0, v128
	s_waitcnt vmcnt(10) lgkmcnt(0)
	v_mul_f64 v[206:207], v[196:197], v[91:92]
	v_mul_f64 v[91:92], v[21:22], v[91:92]
	s_delay_alu instid0(VALU_DEP_3) | instskip(SKIP_1) | instid1(VALU_DEP_1)
	v_cndmask_b32_e64 v108, v0, v128, s0
	v_mul_lo_u16 v0, 0x1e0, v157
	v_sub_nc_u16 v0, v130, v0
	v_fma_f64 v[134:135], v[29:30], v[37:38], v[134:135]
	s_waitcnt vmcnt(8)
	v_mul_f64 v[208:209], v[198:199], v[51:52]
	v_mul_f64 v[51:52], v[23:24], v[51:52]
	v_fma_f64 v[219:220], v[192:193], v[37:38], -v[39:40]
	v_fma_f64 v[221:222], v[31:32], v[69:70], v[163:164]
	v_fma_f64 v[69:70], v[194:195], v[69:70], -v[200:201]
	ds_load_2addr_stride64_b64 v[192:195], v214 offset1:30
	ds_load_2addr_stride64_b64 v[37:40], v214 offset0:44 offset1:46
	ds_load_2addr_stride64_b64 v[29:32], v214 offset0:48 offset1:50
	v_sub_nc_u16 v163, v240, v79
	v_sub_nc_u16 v164, v140, v80
	v_fma_f64 v[204:205], v[25:26], v[81:82], v[204:205]
	v_fma_f64 v[83:84], v[171:172], v[81:82], -v[83:84]
	ds_load_2addr_stride64_b64 v[79:82], v214 offset0:52 offset1:54
	v_fma_f64 v[171:172], v[27:28], v[77:78], v[158:159]
	ds_load_2addr_stride64_b64 v[25:28], v214 offset0:56 offset1:58
	v_fma_f64 v[77:78], v[173:174], v[77:78], -v[160:161]
	v_and_b32_e32 v161, 0xffff, v228
	v_and_b32_e32 v158, 0xffff, v163
	v_fma_f64 v[21:22], v[21:22], v[89:90], v[206:207]
	v_fma_f64 v[89:90], v[196:197], v[89:90], -v[91:92]
	v_sub_nc_u16 v91, v253, v227
	v_and_b32_e32 v92, 0xffff, v0
	v_lshlrev_b32_e32 v0, 3, v176
	v_and_b32_e32 v163, 0xffff, v175
	v_lshlrev_b32_e32 v175, 3, v179
	s_waitcnt vmcnt(5) lgkmcnt(4)
	v_mul_f64 v[206:207], v[194:195], v[75:76]
	v_mul_f64 v[75:76], v[3:4], v[75:76]
	s_waitcnt lgkmcnt(3)
	v_mul_f64 v[223:224], v[37:38], v[87:88]
	v_mul_f64 v[173:174], v[39:40], v[47:48]
	;; [unrolled: 1-line block ×3, first 2 shown]
	s_waitcnt lgkmcnt(2)
	v_mul_f64 v[225:226], v[29:30], v[35:36]
	s_waitcnt vmcnt(4)
	v_mul_f64 v[196:197], v[31:32], v[43:44]
	v_mul_f64 v[47:48], v[19:20], v[47:48]
	;; [unrolled: 1-line block ×3, first 2 shown]
	s_waitcnt vmcnt(2) lgkmcnt(1)
	v_mul_f64 v[227:228], v[81:82], v[59:60]
	v_mul_f64 v[43:44], v[15:16], v[43:44]
	;; [unrolled: 1-line block ×3, first 2 shown]
	v_lshl_add_u32 v176, v180, 3, 0
	v_fma_f64 v[23:24], v[23:24], v[49:50], v[208:209]
	v_mul_f64 v[208:209], v[79:80], v[55:56]
	v_fma_f64 v[49:50], v[198:199], v[49:50], -v[51:52]
	s_waitcnt vmcnt(1) lgkmcnt(0)
	v_mul_f64 v[51:52], v[25:26], v[63:64]
	v_mul_f64 v[55:56], v[9:10], v[55:56]
	s_waitcnt vmcnt(0)
	v_mul_f64 v[198:199], v[27:28], v[67:68]
	v_mul_f64 v[63:64], v[5:6], v[63:64]
	;; [unrolled: 1-line block ×3, first 2 shown]
	v_and_b32_e32 v159, 0xffff, v164
	v_and_b32_e32 v164, 0xffff, v91
	v_lshl_add_u32 v91, v177, 3, 0
	v_lshlrev_b32_e32 v177, 3, v182
	v_lshl_add_u32 v179, v183, 3, 0
	v_lshlrev_b32_e32 v180, 3, v184
	v_lshlrev_b32_e32 v182, 3, v185
	v_and_b32_e32 v160, 0xffff, v162
	v_and_b32_e32 v162, 0xffff, v210
	v_add_nc_u32_e32 v210, 0x4b00, v181
	v_add_f64 v[21:22], v[95:96], -v[21:22]
	v_lshlrev_b64 v[200:201], 4, v[108:109]
	v_lshl_add_u32 v183, v186, 3, 0
	v_lshlrev_b32_e32 v184, 3, v187
	v_lshl_add_u32 v185, v188, 3, 0
	v_add_nc_u32_e32 v91, 0x1e00, v91
	v_lshlrev_b32_e32 v186, 4, v92
	v_fma_f64 v[3:4], v[3:4], v[73:74], v[206:207]
	v_fma_f64 v[73:74], v[194:195], v[73:74], -v[75:76]
	v_fma_f64 v[17:18], v[17:18], v[85:86], v[223:224]
	v_fma_f64 v[19:20], v[19:20], v[45:46], v[173:174]
	v_fma_f64 v[37:38], v[37:38], v[85:86], -v[87:88]
	v_fma_f64 v[13:14], v[13:14], v[33:34], v[225:226]
	v_fma_f64 v[15:16], v[15:16], v[41:42], v[196:197]
	v_fma_f64 v[39:40], v[39:40], v[45:46], -v[47:48]
	v_fma_f64 v[29:30], v[29:30], v[33:34], -v[35:36]
	v_fma_f64 v[11:12], v[11:12], v[57:58], v[227:228]
	v_fma_f64 v[31:32], v[31:32], v[41:42], -v[43:44]
	v_add3_u32 v207, 0, v178, v0
	v_add3_u32 v194, 0, v229, v175
	v_add_f64 v[23:24], v[100:101], -v[23:24]
	v_fma_f64 v[9:10], v[9:10], v[53:54], v[208:209]
	v_add_nc_u32_e32 v195, 0x2d00, v176
	v_fma_f64 v[5:6], v[5:6], v[61:62], v[51:52]
	v_fma_f64 v[43:44], v[79:80], v[53:54], -v[55:56]
	v_fma_f64 v[7:8], v[7:8], v[65:66], v[198:199]
	v_fma_f64 v[53:54], v[81:82], v[57:58], -v[59:60]
	v_fma_f64 v[25:26], v[25:26], v[61:62], -v[63:64]
	;; [unrolled: 1-line block ×3, first 2 shown]
	ds_load_b64 v[45:46], v133
	ds_load_b64 v[47:48], v139
	;; [unrolled: 1-line block ×14, first 2 shown]
	v_add_f64 v[55:56], v[110:111], -v[134:135]
	v_add_f64 v[57:58], v[112:113], -v[221:222]
	;; [unrolled: 1-line block ×4, first 2 shown]
	v_add3_u32 v204, 0, v230, v177
	v_add_nc_u32_e32 v205, 0x3c00, v179
	v_add3_u32 v208, 0, v231, v180
	v_fma_f64 v[95:96], v[95:96], 2.0, -v[21:22]
	v_add3_u32 v209, 0, v232, v182
	v_add_co_u32 v200, s0, s4, v200
	s_delay_alu instid0(VALU_DEP_1)
	v_add_co_ci_u32_e64 v201, s0, s5, v201, s0
	v_add_f64 v[3:4], v[1:2], -v[3:4]
	v_add_f64 v[73:74], v[192:193], -v[73:74]
	s_waitcnt lgkmcnt(13)
	v_add_f64 v[81:82], v[45:46], -v[219:220]
	s_waitcnt lgkmcnt(12)
	;; [unrolled: 2-line block ×3, first 2 shown]
	v_add_f64 v[83:84], v[35:36], -v[83:84]
	v_add_f64 v[77:78], v[33:34], -v[77:78]
	;; [unrolled: 1-line block ×13, first 2 shown]
	s_waitcnt lgkmcnt(4)
	v_add_f64 v[31:32], v[41:42], -v[31:32]
	v_add_f64 v[5:6], v[120:121], -v[5:6]
	s_waitcnt lgkmcnt(3)
	v_add_f64 v[171:172], v[63:64], -v[43:44]
	v_add_f64 v[7:8], v[122:123], -v[7:8]
	s_waitcnt lgkmcnt(2)
	v_add_f64 v[53:54], v[65:66], -v[53:54]
	s_waitcnt lgkmcnt(1)
	;; [unrolled: 2-line block ×3, first 2 shown]
	v_add_f64 v[27:28], v[79:80], -v[27:28]
	v_fma_f64 v[100:101], v[100:101], 2.0, -v[23:24]
	v_fma_f64 v[39:40], v[110:111], 2.0, -v[55:56]
	;; [unrolled: 1-line block ×5, first 2 shown]
	v_add_nc_u32_e32 v183, 0x5a00, v183
	v_add3_u32 v184, 0, v233, v184
	v_add_nc_u32_e32 v185, 0x6900, v185
	s_barrier
	buffer_gl0_inv
	v_lshlrev_b32_e32 v187, 4, v158
	v_lshlrev_b32_e32 v188, 4, v159
	;; [unrolled: 1-line block ×3, first 2 shown]
	v_fma_f64 v[0:1], v[1:2], 2.0, -v[3:4]
	v_fma_f64 v[175:176], v[192:193], 2.0, -v[73:74]
	;; [unrolled: 1-line block ×24, first 2 shown]
	ds_store_2addr_b64 v214, v[0:1], v[3:4] offset1:240
	ds_store_2addr_b64 v138, v[39:40], v[55:56] offset1:240
	;; [unrolled: 1-line block ×15, first 2 shown]
	v_add_co_u32 v24, s0, 0x1000, v200
	s_waitcnt lgkmcnt(0)
	s_barrier
	buffer_gl0_inv
	ds_load_b64 v[120:121], v133
	ds_load_b64 v[122:123], v139
	;; [unrolled: 1-line block ×14, first 2 shown]
	ds_load_2addr_stride64_b64 v[0:3], v214 offset1:30
	ds_load_2addr_stride64_b64 v[44:47], v214 offset0:32 offset1:34
	ds_load_2addr_stride64_b64 v[40:43], v214 offset0:36 offset1:38
	;; [unrolled: 1-line block ×7, first 2 shown]
	s_waitcnt lgkmcnt(0)
	s_barrier
	buffer_gl0_inv
	ds_store_2addr_b64 v214, v[175:176], v[73:74] offset1:240
	ds_store_2addr_b64 v138, v[177:178], v[81:82] offset1:240
	;; [unrolled: 1-line block ×15, first 2 shown]
	v_add_co_ci_u32_e64 v25, s0, 0, v201, s0
	s_waitcnt lgkmcnt(0)
	s_barrier
	buffer_gl0_inv
	s_clause 0x3
	global_load_b128 v[88:91], v[131:132], off offset:3424
	global_load_b128 v[84:87], v[136:137], off offset:3424
	;; [unrolled: 1-line block ×4, first 2 shown]
	v_add_co_u32 v26, s0, s4, v186
	s_delay_alu instid0(VALU_DEP_1) | instskip(SKIP_4) | instid1(VALU_DEP_1)
	v_add_co_ci_u32_e64 v27, null, s5, 0, s0
	v_add_co_u32 v28, s0, s4, v187
	v_lshlrev_b32_e32 v197, 4, v162
	v_add_co_ci_u32_e64 v29, null, s5, 0, s0
	v_add_co_u32 v30, s0, s4, v188
	v_add_co_ci_u32_e64 v31, null, s5, 0, s0
	v_add_co_u32 v34, s0, s4, v196
	s_delay_alu instid0(VALU_DEP_1)
	v_add_co_ci_u32_e64 v35, null, s5, 0, s0
	v_add_co_u32 v48, s0, s4, v197
	s_clause 0x1
	global_load_b128 v[76:79], v[202:203], off offset:1888
	global_load_b128 v[60:63], v[153:154], off offset:3424
	v_add_co_ci_u32_e64 v49, null, s5, 0, s0
	v_add_co_u32 v24, s0, 0x1000, v26
	s_delay_alu instid0(VALU_DEP_1) | instskip(SKIP_1) | instid1(VALU_DEP_1)
	v_add_co_ci_u32_e64 v25, s0, 0, v27, s0
	v_add_co_u32 v28, s0, 0x1000, v28
	v_add_co_ci_u32_e64 v29, s0, 0, v29, s0
	v_add_co_u32 v32, s0, 0x1000, v30
	s_delay_alu instid0(VALU_DEP_1)
	v_add_co_ci_u32_e64 v33, s0, 0, v31, s0
	v_add_co_u32 v36, s0, 0x1000, v34
	v_lshlrev_b32_e32 v198, 4, v161
	v_add_co_ci_u32_e64 v37, s0, 0, v35, s0
	s_clause 0x3
	global_load_b128 v[24:27], v[24:25], off offset:3424
	global_load_b128 v[28:31], v[28:29], off offset:3424
	;; [unrolled: 1-line block ×4, first 2 shown]
	v_add_co_u32 v50, s0, s4, v198
	global_load_b128 v[56:59], v[71:72], off offset:3424
	v_add_co_ci_u32_e64 v51, null, s5, 0, s0
	v_add_co_u32 v48, s0, 0x1000, v48
	v_lshlrev_b32_e32 v199, 4, v163
	v_add_co_ci_u32_e64 v49, s0, 0, v49, s0
	v_add_co_u32 v52, s0, 0x1000, v50
	v_lshlrev_b32_e32 v206, 4, v164
	v_add_co_ci_u32_e64 v53, s0, 0, v51, s0
	v_add_co_u32 v68, s0, s4, v199
	s_delay_alu instid0(VALU_DEP_1) | instskip(NEXT) | instid1(VALU_DEP_4)
	v_add_co_ci_u32_e64 v69, null, s5, 0, s0
	v_add_co_u32 v70, s0, s4, v206
	s_delay_alu instid0(VALU_DEP_1) | instskip(NEXT) | instid1(VALU_DEP_4)
	v_add_co_ci_u32_e64 v71, null, s5, 0, s0
	v_add_co_u32 v68, s0, 0x1000, v68
	s_delay_alu instid0(VALU_DEP_1) | instskip(NEXT) | instid1(VALU_DEP_4)
	v_add_co_ci_u32_e64 v69, s0, 0, v69, s0
	v_add_co_u32 v72, s0, 0x1000, v70
	s_delay_alu instid0(VALU_DEP_1)
	v_add_co_ci_u32_e64 v73, s0, 0, v71, s0
	s_clause 0x3
	global_load_b128 v[48:51], v[48:49], off offset:3424
	global_load_b128 v[52:55], v[52:53], off offset:3424
	;; [unrolled: 1-line block ×4, first 2 shown]
	ds_load_2addr_stride64_b64 v[178:181], v214 offset0:32 offset1:34
	v_add_nc_u32_e32 v131, 0x1400, v211
	v_cmp_lt_u32_e64 s0, 0x1df, v128
	ds_load_2addr_stride64_b64 v[182:185], v214 offset0:36 offset1:38
	v_add_nc_u32_e32 v132, 0x1c00, v211
	v_add_nc_u32_e32 v134, 0x2400, v211
	;; [unrolled: 1-line block ×3, first 2 shown]
	v_cndmask_b32_e64 v138, 0, 0x1e00, s0
	v_add_co_u32 v188, s0, s4, v131
	s_delay_alu instid0(VALU_DEP_1)
	v_add_co_ci_u32_e64 v195, null, s5, 0, s0
	v_add_co_u32 v172, s0, s4, v132
	v_add_nc_u32_e32 v136, 0x3400, v211
	v_lshlrev_b64 v[153:154], 4, v[128:129]
	v_add_co_ci_u32_e64 v177, null, s5, 0, s0
	v_add_co_u32 v173, s0, s4, v134
	s_delay_alu instid0(VALU_DEP_1) | instskip(SKIP_1) | instid1(VALU_DEP_1)
	v_add_co_ci_u32_e64 v176, null, s5, 0, s0
	v_add_co_u32 v175, s0, s4, v135
	v_add_co_ci_u32_e64 v231, null, s5, 0, s0
	v_add_co_u32 v232, s0, s4, v136
	s_delay_alu instid0(VALU_DEP_1) | instskip(SKIP_1) | instid1(VALU_DEP_1)
	v_add_co_ci_u32_e64 v233, null, s5, 0, s0
	v_add_co_u32 v146, s0, s4, v153
	v_add_co_ci_u32_e64 v153, s0, s5, v154, s0
	ds_load_2addr_stride64_b64 v[199:202], v214 offset1:30
	ds_load_2addr_stride64_b64 v[191:194], v214 offset0:44 offset1:46
	ds_load_2addr_stride64_b64 v[203:206], v214 offset0:52 offset1:54
	v_lshlrev_b32_e32 v154, 3, v108
	v_add_nc_u32_e32 v171, 0xfffffc40, v130
	v_lshlrev_b32_e32 v92, 3, v92
	v_add_nc_u32_e32 v174, 0x2700, v156
	s_delay_alu instid0(VALU_DEP_4) | instskip(SKIP_1) | instid1(VALU_DEP_1)
	v_add3_u32 v138, 0, v138, v154
	v_mul_u32_u24_e32 v154, 0x1e00, v157
	v_add3_u32 v92, 0, v154, v92
	s_waitcnt vmcnt(14) lgkmcnt(4)
	v_mul_f64 v[131:132], v[178:179], v[90:91]
	v_mul_f64 v[134:135], v[44:45], v[90:91]
	v_add_co_u32 v90, s0, s4, v149
	s_delay_alu instid0(VALU_DEP_1)
	v_add_co_ci_u32_e64 v91, s0, s5, v150, s0
	s_waitcnt vmcnt(13)
	v_mul_f64 v[136:137], v[180:181], v[86:87]
	v_mul_f64 v[186:187], v[46:47], v[86:87]
	v_add_co_u32 v86, s0, s4, v147
	s_waitcnt vmcnt(12) lgkmcnt(3)
	v_mul_f64 v[207:208], v[182:183], v[82:83]
	v_mul_f64 v[209:210], v[40:41], v[82:83]
	v_add_co_ci_u32_e64 v87, s0, s5, v148, s0
	ds_load_2addr_stride64_b64 v[147:150], v214 offset0:40 offset1:42
	s_waitcnt vmcnt(11)
	v_mul_f64 v[219:220], v[184:185], v[66:67]
	v_mul_f64 v[66:67], v[42:43], v[66:67]
	v_add_co_u32 v82, s0, s4, v144
	s_delay_alu instid0(VALU_DEP_1) | instskip(SKIP_1) | instid1(VALU_DEP_1)
	v_add_co_ci_u32_e64 v83, s0, s5, v145, s0
	v_add_co_u32 v144, s0, 0x3000, v188
	v_add_co_ci_u32_e64 v145, s0, 0, v195, s0
	ds_load_2addr_stride64_b64 v[195:198], v214 offset0:48 offset1:50
	v_add_co_u32 v221, s0, 0x3000, v97
	s_delay_alu instid0(VALU_DEP_1) | instskip(SKIP_1) | instid1(VALU_DEP_1)
	v_add_co_ci_u32_e64 v222, s0, 0, v127, s0
	v_add_co_u32 v223, s0, 0x3000, v126
	v_add_co_ci_u32_e64 v224, s0, 0, v155, s0
	s_waitcnt vmcnt(10) lgkmcnt(1)
	v_mul_f64 v[225:226], v[147:148], v[78:79]
	v_mul_f64 v[78:79], v[20:21], v[78:79]
	s_waitcnt vmcnt(9)
	v_mul_f64 v[227:228], v[149:150], v[62:63]
	v_mul_f64 v[62:63], v[22:23], v[62:63]
	v_fma_f64 v[44:45], v[44:45], v[88:89], v[131:132]
	v_fma_f64 v[88:89], v[178:179], v[88:89], -v[134:135]
	v_lshl_add_u32 v188, v158, 3, 0
	s_waitcnt vmcnt(8)
	v_mul_f64 v[131:132], v[191:192], v[26:27]
	v_mul_f64 v[26:27], v[16:17], v[26:27]
	v_fma_f64 v[46:47], v[46:47], v[84:85], v[136:137]
	v_fma_f64 v[84:85], v[180:181], v[84:85], -v[186:187]
	s_waitcnt vmcnt(7)
	v_mul_f64 v[134:135], v[193:194], v[30:31]
	v_mul_f64 v[30:31], v[18:19], v[30:31]
	v_fma_f64 v[186:187], v[40:41], v[80:81], v[207:208]
	v_fma_f64 v[80:81], v[182:183], v[80:81], -v[209:210]
	s_waitcnt vmcnt(4)
	v_mul_f64 v[182:183], v[201:202], v[58:59]
	v_mul_f64 v[58:59], v[2:3], v[58:59]
	s_waitcnt lgkmcnt(0)
	v_mul_f64 v[178:179], v[195:196], v[34:35]
	v_fma_f64 v[207:208], v[42:43], v[64:65], v[219:220]
	ds_load_2addr_stride64_b64 v[40:43], v214 offset0:56 offset1:58
	v_mul_f64 v[34:35], v[12:13], v[34:35]
	v_mul_f64 v[180:181], v[197:198], v[38:39]
	;; [unrolled: 1-line block ×3, first 2 shown]
	v_fma_f64 v[64:65], v[184:185], v[64:65], -v[66:67]
	v_add_co_u32 v136, s0, 0x3000, v146
	s_delay_alu instid0(VALU_DEP_1) | instskip(SKIP_1) | instid1(VALU_DEP_1)
	v_add_co_ci_u32_e64 v137, s0, 0, v153, s0
	v_add_co_u32 v209, s0, 0x3000, v90
	v_add_co_ci_u32_e64 v210, s0, 0, v91, s0
	v_add_co_u32 v66, s0, 0x3000, v86
	s_delay_alu instid0(VALU_DEP_1)
	v_add_co_ci_u32_e64 v67, s0, 0, v87, s0
	v_add_co_u32 v229, s0, 0x3000, v82
	v_fma_f64 v[20:21], v[20:21], v[76:77], v[225:226]
	v_fma_f64 v[76:77], v[147:148], v[76:77], -v[78:79]
	v_fma_f64 v[22:23], v[22:23], v[60:61], v[227:228]
	s_waitcnt vmcnt(3)
	v_mul_f64 v[184:185], v[203:204], v[50:51]
	v_mul_f64 v[50:51], v[8:9], v[50:51]
	s_waitcnt vmcnt(2)
	v_mul_f64 v[219:220], v[205:206], v[54:55]
	v_mul_f64 v[54:55], v[10:11], v[54:55]
	s_waitcnt vmcnt(1) lgkmcnt(0)
	v_mul_f64 v[78:79], v[40:41], v[70:71]
	v_fma_f64 v[60:61], v[149:150], v[60:61], -v[62:63]
	s_waitcnt vmcnt(0)
	v_mul_f64 v[62:63], v[42:43], v[74:75]
	v_mul_f64 v[70:71], v[4:5], v[70:71]
	;; [unrolled: 1-line block ×3, first 2 shown]
	v_fma_f64 v[16:17], v[16:17], v[24:25], v[131:132]
	v_fma_f64 v[24:25], v[191:192], v[24:25], -v[26:27]
	v_fma_f64 v[18:19], v[18:19], v[28:29], v[134:135]
	v_fma_f64 v[2:3], v[2:3], v[56:57], v[182:183]
	v_fma_f64 v[56:57], v[201:202], v[56:57], -v[58:59]
	v_fma_f64 v[26:27], v[193:194], v[28:29], -v[30:31]
	v_fma_f64 v[12:13], v[12:13], v[32:33], v[178:179]
	v_add_co_ci_u32_e64 v230, s0, 0, v83, s0
	v_fma_f64 v[28:29], v[195:196], v[32:33], -v[34:35]
	v_fma_f64 v[14:15], v[14:15], v[36:37], v[180:181]
	v_fma_f64 v[30:31], v[197:198], v[36:37], -v[38:39]
	v_add_co_u32 v131, s0, 0x3000, v93
	s_delay_alu instid0(VALU_DEP_1) | instskip(SKIP_4) | instid1(VALU_DEP_4)
	v_add_co_ci_u32_e64 v132, s0, 0, v94, s0
	v_cmp_gt_u32_e64 s0, 0x3c0, v130
	v_lshl_add_u32 v225, v161, 3, 0
	v_lshl_add_u32 v226, v163, 3, 0
	;; [unrolled: 1-line block ×3, first 2 shown]
	v_cndmask_b32_e64 v108, v171, v130, s0
	v_lshlrev_b32_e32 v171, 3, v162
	v_add_co_u32 v134, s0, 0x4000, v93
	s_delay_alu instid0(VALU_DEP_1)
	v_add_co_ci_u32_e64 v135, s0, 0, v94, s0
	v_add_f64 v[20:21], v[116:117], -v[20:21]
	v_add_f64 v[22:23], v[118:119], -v[22:23]
	v_fma_f64 v[8:9], v[8:9], v[48:49], v[184:185]
	v_fma_f64 v[32:33], v[203:204], v[48:49], -v[50:51]
	v_fma_f64 v[10:11], v[10:11], v[52:53], v[219:220]
	v_fma_f64 v[34:35], v[205:206], v[52:53], -v[54:55]
	v_fma_f64 v[4:5], v[4:5], v[68:69], v[78:79]
	v_lshl_add_u32 v219, v159, 3, 0
	v_fma_f64 v[6:7], v[6:7], v[72:73], v[62:63]
	ds_load_b64 v[58:59], v133
	ds_load_b64 v[62:63], v139
	;; [unrolled: 1-line block ×3, first 2 shown]
	v_fma_f64 v[36:37], v[40:41], v[68:69], -v[70:71]
	v_fma_f64 v[38:39], v[42:43], v[72:73], -v[74:75]
	v_add_f64 v[40:41], v[120:121], -v[44:45]
	v_add_f64 v[42:43], v[122:123], -v[46:47]
	ds_load_b64 v[44:45], v189
	ds_load_b64 v[46:47], v190
	;; [unrolled: 1-line block ×7, first 2 shown]
	v_add_f64 v[56:57], v[199:200], -v[56:57]
	v_add_f64 v[2:3], v[0:1], -v[2:3]
	v_lshl_add_u32 v220, v160, 3, 0
	ds_load_b64 v[74:75], v167
	ds_load_b64 v[149:150], v168
	;; [unrolled: 1-line block ×4, first 2 shown]
	v_add_f64 v[70:71], v[151:152], -v[186:187]
	v_add_f64 v[72:73], v[124:125], -v[207:208]
	v_add_f64 v[16:17], v[114:115], -v[16:17]
	v_add_f64 v[18:19], v[110:111], -v[18:19]
	v_add_f64 v[12:13], v[102:103], -v[12:13]
	v_add_f64 v[14:15], v[112:113], -v[14:15]
	v_lshlrev_b64 v[147:148], 4, v[108:109]
	v_add3_u32 v141, 0, v141, v171
	s_waitcnt lgkmcnt(13)
	v_add_f64 v[88:89], v[58:59], -v[88:89]
	s_waitcnt lgkmcnt(12)
	v_add_f64 v[84:85], v[62:63], -v[84:85]
	;; [unrolled: 2-line block ×7, first 2 shown]
	v_add_f64 v[163:164], v[48:49], -v[26:27]
	v_add_f64 v[178:179], v[50:51], -v[28:29]
	s_waitcnt lgkmcnt(4)
	v_add_f64 v[180:181], v[68:69], -v[30:31]
	v_add_co_u32 v228, s0, s4, v147
	v_fma_f64 v[116:117], v[116:117], 2.0, -v[20:21]
	v_add_f64 v[8:9], v[104:105], -v[8:9]
	s_waitcnt lgkmcnt(3)
	v_add_f64 v[32:33], v[74:75], -v[32:33]
	v_add_f64 v[10:11], v[106:107], -v[10:11]
	s_waitcnt lgkmcnt(2)
	v_add_f64 v[34:35], v[149:150], -v[34:35]
	v_add_f64 v[4:5], v[95:96], -v[4:5]
	v_fma_f64 v[118:119], v[118:119], 2.0, -v[22:23]
	v_add_f64 v[6:7], v[100:101], -v[6:7]
	v_add_co_ci_u32_e64 v234, s0, s5, v148, s0
	s_waitcnt lgkmcnt(1)
	v_add_f64 v[36:37], v[157:158], -v[36:37]
	s_waitcnt lgkmcnt(0)
	v_add_f64 v[38:39], v[159:160], -v[38:39]
	v_fma_f64 v[24:25], v[120:121], 2.0, -v[40:41]
	v_fma_f64 v[26:27], v[122:123], 2.0, -v[42:43]
	v_fma_f64 v[120:121], v[199:200], 2.0, -v[56:57]
	v_fma_f64 v[0:1], v[0:1], 2.0, -v[2:3]
	s_barrier
	v_fma_f64 v[28:29], v[151:152], 2.0, -v[70:71]
	v_fma_f64 v[30:31], v[124:125], 2.0, -v[72:73]
	;; [unrolled: 1-line block ×6, first 2 shown]
	buffer_gl0_inv
	v_lshlrev_b32_e32 v108, 3, v108
	v_fma_f64 v[58:59], v[58:59], 2.0, -v[88:89]
	v_fma_f64 v[62:63], v[62:63], 2.0, -v[84:85]
	;; [unrolled: 1-line block ×16, first 2 shown]
	ds_store_b64 v214, v[2:3] offset:3840
	ds_store_b64 v214, v[0:1]
	ds_store_b64 v133, v[24:25]
	ds_store_b64 v133, v[40:41] offset:3840
	ds_store_b64 v139, v[26:27]
	ds_store_b64 v139, v[42:43] offset:3840
	;; [unrolled: 2-line block ×3, first 2 shown]
	ds_store_2addr_stride64_b64 v143, v[30:31], v[116:117] offset0:15 offset1:17
	ds_store_2addr_b64 v174, v[118:119], v[72:73] offset1:224
	ds_store_2addr_stride64_b64 v156, v[20:21], v[22:23] offset0:25 offset1:27
	ds_store_b64 v92, v[114:115]
	ds_store_b64 v92, v[16:17] offset:3840
	ds_store_b64 v188, v[110:111] offset:15360
	;; [unrolled: 1-line block ×7, first 2 shown]
	ds_store_b64 v141, v[104:105]
	ds_store_b64 v141, v[8:9] offset:3840
	ds_store_b64 v225, v[106:107] offset:23040
	ds_store_b64 v225, v[10:11] offset:26880
	ds_store_b64 v226, v[95:96] offset:23040
	ds_store_b64 v226, v[4:5] offset:26880
	ds_store_b64 v227, v[100:101] offset:23040
	ds_store_b64 v227, v[6:7] offset:26880
	v_fma_f64 v[124:125], v[157:158], 2.0, -v[36:37]
	v_fma_f64 v[147:148], v[159:160], 2.0, -v[38:39]
	s_waitcnt lgkmcnt(0)
	s_barrier
	buffer_gl0_inv
	ds_load_2addr_stride64_b64 v[0:3], v214 offset1:30
	ds_load_2addr_stride64_b64 v[4:7], v214 offset0:32 offset1:34
	ds_load_b64 v[95:96], v133
	ds_load_b64 v[151:152], v139
	;; [unrolled: 1-line block ×14, first 2 shown]
	ds_load_2addr_stride64_b64 v[8:11], v214 offset0:36 offset1:38
	ds_load_2addr_stride64_b64 v[12:15], v214 offset0:40 offset1:42
	;; [unrolled: 1-line block ×6, first 2 shown]
	s_waitcnt lgkmcnt(0)
	s_barrier
	buffer_gl0_inv
	ds_store_b64 v214, v[120:121]
	ds_store_b64 v214, v[56:57] offset:3840
	ds_store_b64 v133, v[58:59]
	ds_store_b64 v133, v[88:89] offset:3840
	;; [unrolled: 2-line block ×4, first 2 shown]
	ds_store_2addr_stride64_b64 v143, v[52:53], v[78:79] offset0:15 offset1:17
	ds_store_2addr_b64 v174, v[44:45], v[64:65] offset1:224
	ds_store_2addr_stride64_b64 v156, v[76:77], v[60:61] offset0:25 offset1:27
	ds_store_b64 v92, v[46:47]
	ds_store_b64 v92, v[161:162] offset:3840
	ds_store_b64 v188, v[48:49] offset:15360
	;; [unrolled: 1-line block ×7, first 2 shown]
	ds_store_b64 v141, v[74:75]
	ds_store_b64 v141, v[32:33] offset:3840
	ds_store_b64 v225, v[122:123] offset:23040
	;; [unrolled: 1-line block ×7, first 2 shown]
	v_add_co_u32 v60, s0, 0x3000, v228
	s_delay_alu instid0(VALU_DEP_1)
	v_add_co_ci_u32_e64 v61, s0, 0, v234, s0
	s_waitcnt lgkmcnt(0)
	s_barrier
	buffer_gl0_inv
	s_clause 0x5
	global_load_b128 v[32:35], v[221:222], off offset:2912
	global_load_b128 v[36:39], v[223:224], off offset:2912
	;; [unrolled: 1-line block ×6, first 2 shown]
	v_add_co_u32 v76, s0, 0x3000, v172
	s_clause 0x4
	global_load_b128 v[56:59], v[131:132], off offset:3936
	global_load_b128 v[60:63], v[60:61], off offset:2912
	;; [unrolled: 1-line block ×5, first 2 shown]
	v_add_co_ci_u32_e64 v77, s0, 0, v177, s0
	v_add_co_u32 v80, s0, 0x3000, v173
	s_delay_alu instid0(VALU_DEP_1) | instskip(SKIP_1) | instid1(VALU_DEP_1)
	v_add_co_ci_u32_e64 v81, s0, 0, v176, s0
	v_add_co_u32 v84, s0, 0x3000, v175
	v_add_co_ci_u32_e64 v85, s0, 0, v231, s0
	v_add_co_u32 v88, s0, 0x3000, v232
	s_delay_alu instid0(VALU_DEP_1)
	v_add_co_ci_u32_e64 v89, s0, 0, v233, s0
	s_clause 0x3
	global_load_b128 v[76:79], v[76:77], off offset:2912
	global_load_b128 v[100:103], v[80:81], off offset:2912
	;; [unrolled: 1-line block ×4, first 2 shown]
	ds_load_2addr_stride64_b64 v[114:117], v214 offset0:32 offset1:34
	ds_load_2addr_stride64_b64 v[118:121], v214 offset0:36 offset1:38
	;; [unrolled: 1-line block ×5, first 2 shown]
	ds_load_2addr_stride64_b64 v[161:164], v214 offset1:30
	ds_load_2addr_stride64_b64 v[171:174], v214 offset0:52 offset1:54
	ds_load_2addr_stride64_b64 v[175:178], v214 offset0:56 offset1:58
	v_cmp_lt_u32_e64 s0, 0x3bf, v130
	s_delay_alu instid0(VALU_DEP_1) | instskip(NEXT) | instid1(VALU_DEP_1)
	v_cndmask_b32_e64 v92, 0, 0x3c00, s0
	v_add3_u32 v92, 0, v92, v108
	s_waitcnt vmcnt(12) lgkmcnt(6)
	v_mul_f64 v[88:89], v[118:119], v[42:43]
	v_mul_f64 v[80:81], v[114:115], v[34:35]
	;; [unrolled: 1-line block ×3, first 2 shown]
	s_waitcnt vmcnt(11)
	v_mul_f64 v[131:132], v[120:121], v[46:47]
	s_waitcnt vmcnt(10) lgkmcnt(5)
	v_mul_f64 v[134:135], v[122:123], v[50:51]
	s_waitcnt vmcnt(9)
	v_mul_f64 v[136:137], v[124:125], v[54:55]
	s_waitcnt vmcnt(7) lgkmcnt(4)
	v_mul_f64 v[143:144], v[147:148], v[62:63]
	s_waitcnt vmcnt(4) lgkmcnt(2)
	v_mul_f64 v[221:222], v[163:164], v[74:75]
	v_mul_f64 v[179:180], v[149:150], v[58:59]
	;; [unrolled: 1-line block ×12, first 2 shown]
	s_waitcnt vmcnt(3) lgkmcnt(1)
	v_mul_f64 v[223:224], v[171:172], v[78:79]
	s_waitcnt vmcnt(2)
	v_mul_f64 v[225:226], v[173:174], v[102:103]
	s_waitcnt vmcnt(1) lgkmcnt(0)
	v_mul_f64 v[227:228], v[175:176], v[106:107]
	s_waitcnt vmcnt(0)
	v_mul_f64 v[229:230], v[177:178], v[112:113]
	v_mul_f64 v[78:79], v[24:25], v[78:79]
	v_mul_f64 v[54:55], v[14:15], v[54:55]
	v_mul_f64 v[66:67], v[20:21], v[66:67]
	v_mul_f64 v[70:71], v[22:23], v[70:71]
	v_fma_f64 v[8:9], v[8:9], v[40:41], v[88:89]
	v_fma_f64 v[4:5], v[4:5], v[32:33], v[80:81]
	;; [unrolled: 1-line block ×3, first 2 shown]
	v_mul_f64 v[80:81], v[26:27], v[102:103]
	v_mul_f64 v[84:85], v[28:29], v[106:107]
	;; [unrolled: 1-line block ×3, first 2 shown]
	v_fma_f64 v[10:11], v[10:11], v[44:45], v[131:132]
	v_fma_f64 v[2:3], v[2:3], v[72:73], v[221:222]
	;; [unrolled: 1-line block ×8, first 2 shown]
	v_fma_f64 v[36:37], v[116:117], v[36:37], -v[38:39]
	v_fma_f64 v[40:41], v[118:119], v[40:41], -v[42:43]
	;; [unrolled: 1-line block ×5, first 2 shown]
	v_fma_f64 v[24:25], v[24:25], v[76:77], v[223:224]
	v_fma_f64 v[26:27], v[26:27], v[100:101], v[225:226]
	;; [unrolled: 1-line block ×4, first 2 shown]
	v_fma_f64 v[48:49], v[147:148], v[60:61], -v[62:63]
	v_fma_f64 v[50:51], v[149:150], v[56:57], -v[58:59]
	;; [unrolled: 1-line block ×7, first 2 shown]
	ds_load_b64 v[102:103], v133
	ds_load_b64 v[106:107], v139
	;; [unrolled: 1-line block ×14, first 2 shown]
	s_waitcnt lgkmcnt(0)
	s_barrier
	buffer_gl0_inv
	v_add_f64 v[8:9], v[197:198], -v[8:9]
	v_add_f64 v[4:5], v[95:96], -v[4:5]
	;; [unrolled: 1-line block ×3, first 2 shown]
	v_fma_f64 v[58:59], v[173:174], v[100:101], -v[80:81]
	v_fma_f64 v[60:61], v[175:176], v[104:105], -v[84:85]
	;; [unrolled: 1-line block ×3, first 2 shown]
	v_add_f64 v[10:11], v[195:196], -v[10:11]
	v_add_f64 v[2:3], v[0:1], -v[2:3]
	v_add_f64 v[12:13], v[182:183], -v[12:13]
	v_add_f64 v[14:15], v[184:185], -v[14:15]
	v_add_f64 v[16:17], v[186:187], -v[16:17]
	v_add_f64 v[18:19], v[191:192], -v[18:19]
	v_add_f64 v[20:21], v[193:194], -v[20:21]
	v_add_f64 v[22:23], v[199:200], -v[22:23]
	v_add_f64 v[36:37], v[106:107], -v[36:37]
	v_add_f64 v[40:41], v[74:75], -v[40:41]
	v_add_f64 v[38:39], v[161:162], -v[38:39]
	v_add_f64 v[42:43], v[72:73], -v[42:43]
	v_add_f64 v[44:45], v[112:113], -v[44:45]
	v_add_f64 v[24:25], v[201:202], -v[24:25]
	v_add_f64 v[26:27], v[203:204], -v[26:27]
	v_add_f64 v[28:29], v[205:206], -v[28:29]
	v_add_f64 v[30:31], v[207:208], -v[30:31]
	v_add_f64 v[76:77], v[114:115], -v[48:49]
	v_add_f64 v[78:79], v[131:132], -v[50:51]
	v_add_f64 v[88:89], v[64:65], -v[56:57]
	v_add_f64 v[32:33], v[102:103], -v[32:33]
	v_add_f64 v[46:47], v[34:35], -v[46:47]
	v_add_f64 v[80:81], v[134:135], -v[52:53]
	v_add_f64 v[84:85], v[116:117], -v[54:55]
	v_fma_f64 v[52:53], v[197:198], 2.0, -v[8:9]
	v_fma_f64 v[48:49], v[95:96], 2.0, -v[4:5]
	;; [unrolled: 1-line block ×3, first 2 shown]
	v_add_f64 v[100:101], v[66:67], -v[58:59]
	v_add_f64 v[104:105], v[68:69], -v[60:61]
	;; [unrolled: 1-line block ×3, first 2 shown]
	v_fma_f64 v[54:55], v[195:196], 2.0, -v[10:11]
	v_fma_f64 v[0:1], v[0:1], 2.0, -v[2:3]
	;; [unrolled: 1-line block ×17, first 2 shown]
	ds_store_2addr_stride64_b64 v214, v[0:1], v[2:3] offset1:15
	ds_store_2addr_stride64_b64 v133, v[48:49], v[4:5] offset1:15
	;; [unrolled: 1-line block ×8, first 2 shown]
	ds_store_2addr_stride64_b64 v156, v[62:63], v[95:96] offset0:31 offset1:33
	ds_store_2addr_stride64_b64 v156, v[20:21], v[22:23] offset0:48 offset1:50
	;; [unrolled: 1-line block ×7, first 2 shown]
	v_fma_f64 v[151:152], v[64:65], 2.0, -v[88:89]
	v_fma_f64 v[157:158], v[66:67], 2.0, -v[100:101]
	;; [unrolled: 1-line block ×4, first 2 shown]
	s_waitcnt lgkmcnt(0)
	s_barrier
	buffer_gl0_inv
	ds_load_2addr_stride64_b64 v[0:3], v214 offset1:30
	ds_load_2addr_stride64_b64 v[8:11], v214 offset0:32 offset1:34
	ds_load_b64 v[66:67], v133
	ds_load_b64 v[64:65], v139
	ds_load_2addr_stride64_b64 v[28:31], v214 offset0:36 offset1:38
	ds_load_b64 v[62:63], v215
	ds_load_2addr_stride64_b64 v[20:23], v214 offset0:40 offset1:42
	ds_load_2addr_stride64_b64 v[4:7], v214 offset0:44 offset1:46
	ds_load_b64 v[74:75], v189
	ds_load_b64 v[60:61], v190
	;; [unrolled: 1-line block ×11, first 2 shown]
	ds_load_2addr_stride64_b64 v[24:27], v214 offset0:48 offset1:50
	ds_load_2addr_stride64_b64 v[12:15], v214 offset0:52 offset1:54
	;; [unrolled: 1-line block ×3, first 2 shown]
	v_fma_f64 v[102:103], v[102:103], 2.0, -v[32:33]
	v_fma_f64 v[34:35], v[34:35], 2.0, -v[46:47]
	;; [unrolled: 1-line block ×6, first 2 shown]
	s_waitcnt lgkmcnt(0)
	s_barrier
	buffer_gl0_inv
	ds_store_2addr_stride64_b64 v214, v[143:144], v[38:39] offset1:15
	ds_store_2addr_stride64_b64 v133, v[102:103], v[32:33] offset1:15
	;; [unrolled: 1-line block ×8, first 2 shown]
	ds_store_2addr_stride64_b64 v156, v[131:132], v[134:135] offset0:31 offset1:33
	ds_store_2addr_stride64_b64 v156, v[80:81], v[84:85] offset0:48 offset1:50
	;; [unrolled: 1-line block ×7, first 2 shown]
	s_waitcnt lgkmcnt(0)
	s_barrier
	buffer_gl0_inv
	s_and_saveexec_b32 s0, vcc_lo
	s_cbranch_execz .LBB0_15
; %bb.14:
	v_mul_i32_i24_e32 v179, 0xffffffb8, v251
	v_mov_b32_e32 v254, v109
	v_mov_b32_e32 v250, v109
	;; [unrolled: 1-line block ×3, first 2 shown]
	s_delay_alu instid0(VALU_DEP_4) | instskip(NEXT) | instid1(VALU_DEP_4)
	v_dual_mov_b32 v246, v109 :: v_dual_add_nc_u32 v237, v212, v179
	v_lshlrev_b64 v[32:33], 4, v[253:254]
	s_delay_alu instid0(VALU_DEP_4) | instskip(NEXT) | instid1(VALU_DEP_4)
	v_lshlrev_b64 v[34:35], 4, v[249:250]
	v_lshlrev_b64 v[40:41], 4, v[242:243]
	v_mov_b32_e32 v242, v109
	v_mov_b32_e32 v141, v109
	;; [unrolled: 1-line block ×3, first 2 shown]
	v_add_co_u32 v32, vcc_lo, s4, v32
	v_add_co_ci_u32_e32 v33, vcc_lo, s5, v33, vcc_lo
	v_add_co_u32 v34, vcc_lo, s4, v34
	v_add_co_ci_u32_e32 v35, vcc_lo, s5, v35, vcc_lo
	s_delay_alu instid0(VALU_DEP_4) | instskip(NEXT) | instid1(VALU_DEP_4)
	v_add_co_u32 v32, vcc_lo, 0x7000, v32
	v_add_co_ci_u32_e32 v33, vcc_lo, 0, v33, vcc_lo
	s_delay_alu instid0(VALU_DEP_4) | instskip(NEXT) | instid1(VALU_DEP_4)
	v_add_co_u32 v34, vcc_lo, 0x7000, v34
	v_add_co_ci_u32_e32 v35, vcc_lo, 0, v35, vcc_lo
	v_add_co_u32 v42, vcc_lo, s4, v40
	v_add_co_ci_u32_e32 v43, vcc_lo, s5, v41, vcc_lo
	v_lshlrev_b64 v[40:41], 4, v[241:242]
	s_delay_alu instid0(VALU_DEP_3) | instskip(NEXT) | instid1(VALU_DEP_3)
	v_add_co_u32 v95, vcc_lo, 0x7000, v42
	v_add_co_ci_u32_e32 v96, vcc_lo, 0, v43, vcc_lo
	v_mov_b32_e32 v241, v109
	s_delay_alu instid0(VALU_DEP_4) | instskip(SKIP_2) | instid1(VALU_DEP_3)
	v_add_co_u32 v40, vcc_lo, s4, v40
	v_add_co_ci_u32_e32 v41, vcc_lo, s5, v41, vcc_lo
	v_lshlrev_b64 v[114:115], 4, v[140:141]
	v_add_co_u32 v100, vcc_lo, 0x7000, v40
	s_delay_alu instid0(VALU_DEP_3)
	v_add_co_ci_u32_e32 v101, vcc_lo, 0, v41, vcc_lo
	v_lshlrev_b64 v[40:41], 4, v[245:246]
	v_add_co_u32 v42, vcc_lo, 0x7000, v82
	v_add_co_ci_u32_e32 v43, vcc_lo, 0, v83, vcc_lo
	s_clause 0x1
	global_load_b128 v[36:39], v[32:33], off offset:1888
	global_load_b128 v[32:35], v[34:35], off offset:1888
	v_add_co_u32 v82, vcc_lo, s4, v40
	v_add_co_ci_u32_e32 v83, vcc_lo, s5, v41, vcc_lo
	v_add_co_u32 v44, vcc_lo, 0x7000, v90
	v_add_co_ci_u32_e32 v45, vcc_lo, 0, v91, vcc_lo
	v_add_co_u32 v46, vcc_lo, 0x7000, v146
	v_add_co_ci_u32_e32 v47, vcc_lo, 0, v153, vcc_lo
	v_add_co_u32 v80, vcc_lo, 0x7000, v86
	v_add_co_ci_u32_e32 v81, vcc_lo, 0, v87, vcc_lo
	v_add_co_u32 v84, vcc_lo, 0x7000, v126
	v_add_co_ci_u32_e32 v85, vcc_lo, 0, v155, vcc_lo
	v_add_co_u32 v88, vcc_lo, 0x7000, v97
	v_add_co_ci_u32_e32 v89, vcc_lo, 0, v127, vcc_lo
	v_add_co_u32 v104, vcc_lo, 0x7000, v82
	v_add_co_ci_u32_e32 v105, vcc_lo, 0, v83, vcc_lo
	v_add_co_u32 v110, vcc_lo, 0x7000, v93
	v_add_co_ci_u32_e32 v111, vcc_lo, 0, v94, vcc_lo
	s_clause 0x9
	global_load_b128 v[40:43], v[42:43], off offset:1888
	global_load_b128 v[76:79], v[44:45], off offset:1888
	;; [unrolled: 1-line block ×10, first 2 shown]
	v_lshlrev_b64 v[96:97], 4, v[240:241]
	v_add_co_u32 v118, vcc_lo, s4, v114
	v_add_co_ci_u32_e32 v119, vcc_lo, s5, v115, vcc_lo
	v_mul_i32_i24_e32 v180, 0xffffffb8, v247
	s_delay_alu instid0(VALU_DEP_4) | instskip(SKIP_2) | instid1(VALU_DEP_3)
	v_add_co_u32 v108, vcc_lo, s4, v96
	v_add_co_ci_u32_e32 v109, vcc_lo, s5, v97, vcc_lo
	v_lshlrev_b64 v[96:97], 4, v[130:131]
	v_add_co_u32 v108, vcc_lo, 0x7000, v108
	s_delay_alu instid0(VALU_DEP_3) | instskip(SKIP_1) | instid1(VALU_DEP_4)
	v_add_co_ci_u32_e32 v109, vcc_lo, 0, v109, vcc_lo
	v_or_b32_e32 v183, 0x1000, v211
	v_add_co_u32 v96, vcc_lo, s4, v96
	v_add_co_ci_u32_e32 v97, vcc_lo, s5, v97, vcc_lo
	global_load_b128 v[114:117], v[108:109], off offset:1888
	v_add_co_u32 v96, vcc_lo, 0x7000, v96
	v_add_co_ci_u32_e32 v97, vcc_lo, 0, v97, vcc_lo
	v_add_co_u32 v108, vcc_lo, 0x7000, v118
	v_add_co_ci_u32_e32 v109, vcc_lo, 0, v119, vcc_lo
	s_clause 0x1
	global_load_b128 v[118:121], v[96:97], off offset:1888
	global_load_b128 v[122:125], v[108:109], off offset:1888
	ds_load_2addr_stride64_b64 v[126:129], v214 offset0:56 offset1:58
	ds_load_2addr_stride64_b64 v[130:133], v214 offset0:52 offset1:54
	ds_load_b64 v[134:135], v170
	ds_load_b64 v[160:161], v169
	;; [unrolled: 1-line block ×4, first 2 shown]
	ds_load_2addr_stride64_b64 v[136:139], v214 offset0:48 offset1:50
	ds_load_2addr_stride64_b64 v[140:143], v214 offset0:44 offset1:46
	ds_load_b64 v[169:170], v166
	ds_load_b64 v[164:165], v165
	;; [unrolled: 1-line block ×4, first 2 shown]
	ds_load_2addr_stride64_b64 v[144:147], v214 offset0:40 offset1:42
	ds_load_b64 v[173:174], v218
	ds_load_b64 v[108:109], v217
	;; [unrolled: 1-line block ×4, first 2 shown]
	ds_load_2addr_stride64_b64 v[148:151], v214 offset0:36 offset1:38
	ds_load_2addr_stride64_b64 v[152:155], v214 offset0:32 offset1:34
	ds_load_2addr_stride64_b64 v[156:159], v214 offset1:30
	scratch_load_b64 v[181:182], off, off   ; 8-byte Folded Reload
	v_add_nc_u32_e32 v236, v213, v180
	v_or_b32_e32 v185, 0x8800, v211
	v_or_b32_e32 v187, 0x1800, v211
	;; [unrolled: 1-line block ×24, first 2 shown]
	s_waitcnt vmcnt(13)
	v_mul_f64 v[207:208], v[22:23], v[42:43]
	s_waitcnt vmcnt(11)
	v_mul_f64 v[201:202], v[28:29], v[46:47]
	s_waitcnt lgkmcnt(7)
	v_mul_f64 v[42:43], v[146:147], v[42:43]
	s_waitcnt vmcnt(10)
	v_mul_f64 v[209:210], v[20:21], v[82:83]
	s_waitcnt lgkmcnt(2)
	v_mul_f64 v[46:47], v[148:149], v[46:47]
	s_waitcnt vmcnt(8)
	v_mul_f64 v[215:216], v[8:9], v[90:91]
	s_waitcnt vmcnt(4)
	v_mul_f64 v[219:220], v[2:3], v[112:113]
	s_waitcnt lgkmcnt(0)
	v_mul_f64 v[112:113], v[158:159], v[112:113]
	v_mul_f64 v[90:91], v[152:153], v[90:91]
	;; [unrolled: 1-line block ×3, first 2 shown]
	v_fma_f64 v[146:147], v[40:41], v[146:147], -v[207:208]
	s_waitcnt vmcnt(0)
	v_add_co_u32 v166, vcc_lo, s8, v181
	v_add_co_ci_u32_e32 v225, vcc_lo, s9, v182, vcc_lo
	v_or_b32_e32 v181, 0x8000, v211
	s_delay_alu instid0(VALU_DEP_3) | instskip(NEXT) | instid1(VALU_DEP_3)
	v_add_co_u32 v179, vcc_lo, v166, v98
	v_add_co_ci_u32_e32 v180, vcc_lo, v225, v99, vcc_lo
	s_delay_alu instid0(VALU_DEP_3)
	v_add_co_u32 v181, vcc_lo, v166, v181
	v_add_co_ci_u32_e32 v182, vcc_lo, 0, v225, vcc_lo
	v_add_co_u32 v183, vcc_lo, v166, v183
	v_add_co_ci_u32_e32 v184, vcc_lo, 0, v225, vcc_lo
	;; [unrolled: 2-line block ×10, first 2 shown]
	v_add_co_u32 v203, vcc_lo, v166, v203
	v_mul_f64 v[98:99], v[30:31], v[78:79]
	v_mul_f64 v[78:79], v[150:151], v[78:79]
	v_add_co_ci_u32_e32 v204, vcc_lo, 0, v225, vcc_lo
	v_add_co_u32 v205, vcc_lo, v166, v205
	v_add_co_ci_u32_e32 v206, vcc_lo, 0, v225, vcc_lo
	v_add_co_u32 v211, vcc_lo, v166, v214
	v_mul_f64 v[213:214], v[10:11], v[86:87]
	v_mul_f64 v[86:87], v[154:155], v[86:87]
	v_fma_f64 v[22:23], v[22:23], v[40:41], v[42:43]
	v_mul_f64 v[40:41], v[6:7], v[116:117]
	v_mul_f64 v[42:43], v[142:143], v[116:117]
	v_fma_f64 v[116:117], v[80:81], v[144:145], -v[209:210]
	v_mul_f64 v[144:145], v[4:5], v[120:121]
	v_mul_f64 v[120:121], v[140:141], v[120:121]
	v_fma_f64 v[28:29], v[28:29], v[44:45], v[46:47]
	v_mul_f64 v[46:47], v[132:133], v[94:95]
	v_fma_f64 v[80:81], v[20:21], v[80:81], v[82:83]
	v_add_co_ci_u32_e32 v212, vcc_lo, 0, v225, vcc_lo
	v_add_co_u32 v217, vcc_lo, v166, v217
	v_add_co_ci_u32_e32 v218, vcc_lo, 0, v225, vcc_lo
	v_add_co_u32 v221, vcc_lo, v166, v221
	;; [unrolled: 2-line block ×3, first 2 shown]
	v_add_co_ci_u32_e32 v224, vcc_lo, 0, v225, vcc_lo
	v_fma_f64 v[98:99], v[76:77], v[150:151], -v[98:99]
	v_fma_f64 v[30:31], v[30:31], v[76:77], v[78:79]
	v_mul_f64 v[76:77], v[18:19], v[38:39]
	v_mul_f64 v[38:39], v[128:129], v[38:39]
	v_fma_f64 v[78:79], v[44:45], v[148:149], -v[201:202]
	v_mul_f64 v[148:149], v[16:17], v[34:35]
	v_mul_f64 v[150:151], v[26:27], v[106:107]
	;; [unrolled: 1-line block ×5, first 2 shown]
	v_fma_f64 v[154:155], v[84:85], v[154:155], -v[213:214]
	v_fma_f64 v[84:85], v[10:11], v[84:85], v[86:87]
	v_mul_f64 v[10:11], v[24:25], v[124:125]
	v_mul_f64 v[86:87], v[136:137], v[124:125]
	;; [unrolled: 1-line block ×4, first 2 shown]
	v_fma_f64 v[124:125], v[88:89], v[152:153], -v[215:216]
	v_fma_f64 v[152:153], v[110:111], v[158:159], -v[219:220]
	v_fma_f64 v[110:111], v[2:3], v[110:111], v[112:113]
	v_fma_f64 v[88:89], v[8:9], v[88:89], v[90:91]
	v_fma_f64 v[82:83], v[118:119], v[140:141], -v[144:145]
	v_fma_f64 v[90:91], v[4:5], v[118:119], v[120:121]
	v_fma_f64 v[118:119], v[114:115], v[142:143], -v[40:41]
	v_fma_f64 v[42:43], v[6:7], v[114:115], v[42:43]
	ds_load_b64 v[112:113], v236
	ds_load_b64 v[215:216], v237
	v_fma_f64 v[46:47], v[14:15], v[92:93], v[46:47]
	v_add_f64 v[2:3], v[74:75], -v[22:23]
	v_add_f64 v[22:23], v[70:71], -v[28:29]
	;; [unrolled: 1-line block ×5, first 2 shown]
	v_add_co_u32 v158, vcc_lo, v166, v226
	v_add_co_ci_u32_e32 v159, vcc_lo, 0, v225, vcc_lo
	v_add_co_u32 v201, vcc_lo, v166, v227
	v_add_co_ci_u32_e32 v202, vcc_lo, 0, v225, vcc_lo
	v_add_f64 v[28:29], v[173:174], -v[98:99]
	v_fma_f64 v[76:77], v[36:37], v[128:129], -v[76:77]
	v_fma_f64 v[36:37], v[18:19], v[36:37], v[38:39]
	v_add_co_u32 v207, vcc_lo, v166, v228
	v_fma_f64 v[38:39], v[32:33], v[126:127], -v[148:149]
	v_fma_f64 v[120:121], v[104:105], v[138:139], -v[150:151]
	v_fma_f64 v[104:105], v[26:27], v[104:105], v[106:107]
	v_fma_f64 v[94:95], v[100:101], v[130:131], -v[94:95]
	s_waitcnt lgkmcnt(1)
	v_add_f64 v[20:21], v[112:113], -v[154:155]
	v_add_f64 v[18:19], v[64:65], -v[84:85]
	v_fma_f64 v[114:115], v[122:123], v[136:137], -v[10:11]
	v_fma_f64 v[86:87], v[24:25], v[122:123], v[86:87]
	v_fma_f64 v[100:101], v[12:13], v[100:101], v[102:103]
	v_fma_f64 v[102:103], v[92:93], v[132:133], -v[44:45]
	v_fma_f64 v[34:35], v[16:17], v[32:33], v[34:35]
	v_add_f64 v[16:17], v[156:157], -v[152:153]
	v_add_f64 v[14:15], v[0:1], -v[110:111]
	s_waitcnt lgkmcnt(0)
	v_add_f64 v[12:13], v[215:216], -v[124:125]
	v_add_f64 v[10:11], v[66:67], -v[88:89]
	v_add_f64 v[24:25], v[108:109], -v[78:79]
	v_add_f64 v[26:27], v[68:69], -v[30:31]
	v_add_f64 v[40:41], v[171:172], -v[82:83]
	v_add_f64 v[44:45], v[164:165], -v[118:119]
	v_add_f64 v[42:43], v[56:57], -v[42:43]
	v_add_f64 v[88:89], v[48:49], -v[46:47]
	v_add_co_ci_u32_e32 v208, vcc_lo, 0, v225, vcc_lo
	v_add_co_u32 v209, vcc_lo, v166, v229
	v_fma_f64 v[98:99], v[177:178], 2.0, -v[8:9]
	v_add_co_ci_u32_e32 v210, vcc_lo, 0, v225, vcc_lo
	v_fma_f64 v[92:93], v[74:75], 2.0, -v[2:3]
	v_add_co_u32 v213, vcc_lo, v166, v230
	v_add_co_ci_u32_e32 v214, vcc_lo, 0, v225, vcc_lo
	v_add_co_u32 v132, vcc_lo, v166, v231
	v_add_f64 v[30:31], v[72:73], -v[36:37]
	v_add_f64 v[32:33], v[134:135], -v[76:77]
	v_add_co_ci_u32_e32 v133, vcc_lo, 0, v225, vcc_lo
	v_add_f64 v[36:37], v[160:161], -v[38:39]
	v_add_f64 v[38:39], v[60:61], -v[90:91]
	;; [unrolled: 1-line block ×4, first 2 shown]
	v_fma_f64 v[64:65], v[64:65], 2.0, -v[18:19]
	v_add_f64 v[78:79], v[169:170], -v[114:115]
	v_add_f64 v[76:77], v[52:53], -v[86:87]
	;; [unrolled: 1-line block ×6, first 2 shown]
	v_fma_f64 v[106:107], v[156:157], 2.0, -v[16:17]
	v_fma_f64 v[104:105], v[0:1], 2.0, -v[14:15]
	;; [unrolled: 1-line block ×14, first 2 shown]
	v_add_co_u32 v136, vcc_lo, v166, v232
	v_add_co_ci_u32_e32 v137, vcc_lo, 0, v225, vcc_lo
	v_add_co_u32 v46, vcc_lo, v166, v233
	v_add_co_ci_u32_e32 v47, vcc_lo, 0, v225, vcc_lo
	v_fma_f64 v[128:129], v[48:49], 2.0, -v[88:89]
	v_add_co_u32 v138, vcc_lo, v166, v234
	v_add_co_ci_u32_e32 v139, vcc_lo, 0, v225, vcc_lo
	v_fma_f64 v[62:63], v[160:161], 2.0, -v[36:37]
	v_fma_f64 v[112:113], v[60:61], 2.0, -v[38:39]
	;; [unrolled: 1-line block ×12, first 2 shown]
	v_add_co_u32 v0, vcc_lo, v166, v235
	v_add_co_ci_u32_e32 v1, vcc_lo, 0, v225, vcc_lo
	v_add_co_u32 v48, vcc_lo, 0x7000, v179
	v_add_co_ci_u32_e32 v49, vcc_lo, 0, v180, vcc_lo
	v_add_co_u32 v50, vcc_lo, 0x7000, v205
	v_add_co_ci_u32_e32 v51, vcc_lo, 0, v206, vcc_lo
	s_clause 0x1d
	global_store_b128 v[48:49], v[14:17], off offset:2048
	global_store_b128 v[179:180], v[104:107], off
	global_store_b128 v[179:180], v[100:103], off offset:2048
	global_store_b128 v[181:182], v[10:13], off
	global_store_b128 v[183:184], v[64:67], off
	;; [unrolled: 1-line block ×12, first 2 shown]
	global_store_b128 v[50:51], v[38:41], off offset:2048
	global_store_b128 v[211:212], v[116:119], off
	global_store_b128 v[217:218], v[42:45], off
	;; [unrolled: 1-line block ×14, first 2 shown]
.LBB0_15:
	s_nop 0
	s_sendmsg sendmsg(MSG_DEALLOC_VGPRS)
	s_endpgm
	.section	.rodata,"a",@progbits
	.p2align	6, 0x0
	.amdhsa_kernel fft_rtc_back_len3840_factors_10_6_2_2_2_2_2_2_wgs_128_tpt_128_halfLds_dp_ip_CI_unitstride_sbrr_dirReg
		.amdhsa_group_segment_fixed_size 0
		.amdhsa_private_segment_fixed_size 36
		.amdhsa_kernarg_size 88
		.amdhsa_user_sgpr_count 15
		.amdhsa_user_sgpr_dispatch_ptr 0
		.amdhsa_user_sgpr_queue_ptr 0
		.amdhsa_user_sgpr_kernarg_segment_ptr 1
		.amdhsa_user_sgpr_dispatch_id 0
		.amdhsa_user_sgpr_private_segment_size 0
		.amdhsa_wavefront_size32 1
		.amdhsa_uses_dynamic_stack 0
		.amdhsa_enable_private_segment 1
		.amdhsa_system_sgpr_workgroup_id_x 1
		.amdhsa_system_sgpr_workgroup_id_y 0
		.amdhsa_system_sgpr_workgroup_id_z 0
		.amdhsa_system_sgpr_workgroup_info 0
		.amdhsa_system_vgpr_workitem_id 0
		.amdhsa_next_free_vgpr 256
		.amdhsa_next_free_sgpr 21
		.amdhsa_reserve_vcc 1
		.amdhsa_float_round_mode_32 0
		.amdhsa_float_round_mode_16_64 0
		.amdhsa_float_denorm_mode_32 3
		.amdhsa_float_denorm_mode_16_64 3
		.amdhsa_dx10_clamp 1
		.amdhsa_ieee_mode 1
		.amdhsa_fp16_overflow 0
		.amdhsa_workgroup_processor_mode 1
		.amdhsa_memory_ordered 1
		.amdhsa_forward_progress 0
		.amdhsa_shared_vgpr_count 0
		.amdhsa_exception_fp_ieee_invalid_op 0
		.amdhsa_exception_fp_denorm_src 0
		.amdhsa_exception_fp_ieee_div_zero 0
		.amdhsa_exception_fp_ieee_overflow 0
		.amdhsa_exception_fp_ieee_underflow 0
		.amdhsa_exception_fp_ieee_inexact 0
		.amdhsa_exception_int_div_zero 0
	.end_amdhsa_kernel
	.text
.Lfunc_end0:
	.size	fft_rtc_back_len3840_factors_10_6_2_2_2_2_2_2_wgs_128_tpt_128_halfLds_dp_ip_CI_unitstride_sbrr_dirReg, .Lfunc_end0-fft_rtc_back_len3840_factors_10_6_2_2_2_2_2_2_wgs_128_tpt_128_halfLds_dp_ip_CI_unitstride_sbrr_dirReg
                                        ; -- End function
	.section	.AMDGPU.csdata,"",@progbits
; Kernel info:
; codeLenInByte = 27488
; NumSgprs: 23
; NumVgprs: 256
; ScratchSize: 36
; MemoryBound: 1
; FloatMode: 240
; IeeeMode: 1
; LDSByteSize: 0 bytes/workgroup (compile time only)
; SGPRBlocks: 2
; VGPRBlocks: 31
; NumSGPRsForWavesPerEU: 23
; NumVGPRsForWavesPerEU: 256
; Occupancy: 5
; WaveLimiterHint : 1
; COMPUTE_PGM_RSRC2:SCRATCH_EN: 1
; COMPUTE_PGM_RSRC2:USER_SGPR: 15
; COMPUTE_PGM_RSRC2:TRAP_HANDLER: 0
; COMPUTE_PGM_RSRC2:TGID_X_EN: 1
; COMPUTE_PGM_RSRC2:TGID_Y_EN: 0
; COMPUTE_PGM_RSRC2:TGID_Z_EN: 0
; COMPUTE_PGM_RSRC2:TIDIG_COMP_CNT: 0
	.text
	.p2alignl 7, 3214868480
	.fill 96, 4, 3214868480
	.type	__hip_cuid_48d0769b81cdeda0,@object ; @__hip_cuid_48d0769b81cdeda0
	.section	.bss,"aw",@nobits
	.globl	__hip_cuid_48d0769b81cdeda0
__hip_cuid_48d0769b81cdeda0:
	.byte	0                               ; 0x0
	.size	__hip_cuid_48d0769b81cdeda0, 1

	.ident	"AMD clang version 19.0.0git (https://github.com/RadeonOpenCompute/llvm-project roc-6.4.0 25133 c7fe45cf4b819c5991fe208aaa96edf142730f1d)"
	.section	".note.GNU-stack","",@progbits
	.addrsig
	.addrsig_sym __hip_cuid_48d0769b81cdeda0
	.amdgpu_metadata
---
amdhsa.kernels:
  - .args:
      - .actual_access:  read_only
        .address_space:  global
        .offset:         0
        .size:           8
        .value_kind:     global_buffer
      - .offset:         8
        .size:           8
        .value_kind:     by_value
      - .actual_access:  read_only
        .address_space:  global
        .offset:         16
        .size:           8
        .value_kind:     global_buffer
      - .actual_access:  read_only
        .address_space:  global
        .offset:         24
        .size:           8
        .value_kind:     global_buffer
      - .offset:         32
        .size:           8
        .value_kind:     by_value
      - .actual_access:  read_only
        .address_space:  global
        .offset:         40
        .size:           8
        .value_kind:     global_buffer
      - .actual_access:  read_only
        .address_space:  global
        .offset:         48
        .size:           8
        .value_kind:     global_buffer
      - .offset:         56
        .size:           4
        .value_kind:     by_value
      - .actual_access:  read_only
        .address_space:  global
        .offset:         64
        .size:           8
        .value_kind:     global_buffer
      - .actual_access:  read_only
        .address_space:  global
        .offset:         72
        .size:           8
        .value_kind:     global_buffer
      - .address_space:  global
        .offset:         80
        .size:           8
        .value_kind:     global_buffer
    .group_segment_fixed_size: 0
    .kernarg_segment_align: 8
    .kernarg_segment_size: 88
    .language:       OpenCL C
    .language_version:
      - 2
      - 0
    .max_flat_workgroup_size: 128
    .name:           fft_rtc_back_len3840_factors_10_6_2_2_2_2_2_2_wgs_128_tpt_128_halfLds_dp_ip_CI_unitstride_sbrr_dirReg
    .private_segment_fixed_size: 36
    .sgpr_count:     23
    .sgpr_spill_count: 0
    .symbol:         fft_rtc_back_len3840_factors_10_6_2_2_2_2_2_2_wgs_128_tpt_128_halfLds_dp_ip_CI_unitstride_sbrr_dirReg.kd
    .uniform_work_group_size: 1
    .uses_dynamic_stack: false
    .vgpr_count:     256
    .vgpr_spill_count: 8
    .wavefront_size: 32
    .workgroup_processor_mode: 1
amdhsa.target:   amdgcn-amd-amdhsa--gfx1100
amdhsa.version:
  - 1
  - 2
...

	.end_amdgpu_metadata
